;; amdgpu-corpus repo=ROCm/rocFFT kind=compiled arch=gfx950 opt=O3
	.text
	.amdgcn_target "amdgcn-amd-amdhsa--gfx950"
	.amdhsa_code_object_version 6
	.protected	fft_rtc_back_len578_factors_17_17_2_wgs_238_tpt_34_halfLds_dp_op_CI_CI_unitstride_sbrr_R2C_dirReg ; -- Begin function fft_rtc_back_len578_factors_17_17_2_wgs_238_tpt_34_halfLds_dp_op_CI_CI_unitstride_sbrr_R2C_dirReg
	.globl	fft_rtc_back_len578_factors_17_17_2_wgs_238_tpt_34_halfLds_dp_op_CI_CI_unitstride_sbrr_R2C_dirReg
	.p2align	8
	.type	fft_rtc_back_len578_factors_17_17_2_wgs_238_tpt_34_halfLds_dp_op_CI_CI_unitstride_sbrr_R2C_dirReg,@function
fft_rtc_back_len578_factors_17_17_2_wgs_238_tpt_34_halfLds_dp_op_CI_CI_unitstride_sbrr_R2C_dirReg: ; @fft_rtc_back_len578_factors_17_17_2_wgs_238_tpt_34_halfLds_dp_op_CI_CI_unitstride_sbrr_R2C_dirReg
; %bb.0:
	s_load_dwordx4 s[4:7], s[0:1], 0x58
	s_load_dwordx4 s[8:11], s[0:1], 0x0
	;; [unrolled: 1-line block ×3, first 2 shown]
	v_mul_u32_u24_e32 v1, 0x788, v0
	v_lshrrev_b32_e32 v2, 16, v1
	v_mad_u64_u32 v[4:5], s[2:3], s2, 7, v[2:3]
	v_mov_b32_e32 v6, 0
	v_mov_b32_e32 v5, v6
	s_waitcnt lgkmcnt(0)
	v_cmp_lt_u64_e64 s[2:3], s[10:11], 2
	v_mov_b64_e32 v[2:3], 0
	s_and_b64 vcc, exec, s[2:3]
	v_mov_b64_e32 v[72:73], v[2:3]
	v_mov_b64_e32 v[76:77], v[4:5]
	s_cbranch_vccnz .LBB0_8
; %bb.1:
	s_load_dwordx2 s[2:3], s[0:1], 0x10
	s_add_u32 s16, s14, 8
	s_addc_u32 s17, s15, 0
	s_add_u32 s18, s12, 8
	s_addc_u32 s19, s13, 0
	s_waitcnt lgkmcnt(0)
	s_add_u32 s20, s2, 8
	v_mov_b64_e32 v[2:3], 0
	s_addc_u32 s21, s3, 0
	s_mov_b64 s[22:23], 1
	v_mov_b64_e32 v[72:73], v[2:3]
	v_mov_b64_e32 v[8:9], v[4:5]
.LBB0_2:                                ; =>This Inner Loop Header: Depth=1
	s_load_dwordx2 s[24:25], s[20:21], 0x0
                                        ; implicit-def: $vgpr76_vgpr77
	s_waitcnt lgkmcnt(0)
	v_or_b32_e32 v7, s25, v9
	v_cmp_ne_u64_e32 vcc, 0, v[6:7]
	s_and_saveexec_b64 s[2:3], vcc
	s_xor_b64 s[26:27], exec, s[2:3]
	s_cbranch_execz .LBB0_4
; %bb.3:                                ;   in Loop: Header=BB0_2 Depth=1
	v_cvt_f32_u32_e32 v1, s24
	v_cvt_f32_u32_e32 v5, s25
	s_sub_u32 s2, 0, s24
	s_subb_u32 s3, 0, s25
	v_fmac_f32_e32 v1, 0x4f800000, v5
	v_rcp_f32_e32 v1, v1
	s_nop 0
	v_mul_f32_e32 v1, 0x5f7ffffc, v1
	v_mul_f32_e32 v5, 0x2f800000, v1
	v_trunc_f32_e32 v5, v5
	v_fmac_f32_e32 v1, 0xcf800000, v5
	v_cvt_u32_f32_e32 v5, v5
	v_cvt_u32_f32_e32 v1, v1
	v_mul_lo_u32 v7, s2, v5
	v_mul_hi_u32 v10, s2, v1
	v_mul_lo_u32 v11, s3, v1
	v_add_u32_e32 v7, v10, v7
	v_mul_lo_u32 v14, s2, v1
	v_add_u32_e32 v7, v7, v11
	v_mul_hi_u32 v10, v1, v14
	v_mul_hi_u32 v13, v1, v7
	v_mul_lo_u32 v12, v1, v7
	v_mov_b32_e32 v11, v6
	v_lshl_add_u64 v[10:11], v[10:11], 0, v[12:13]
	v_mul_hi_u32 v13, v5, v14
	v_mul_lo_u32 v14, v5, v14
	v_add_co_u32_e32 v10, vcc, v10, v14
	v_mul_hi_u32 v12, v5, v7
	s_nop 0
	v_addc_co_u32_e32 v10, vcc, v11, v13, vcc
	v_mov_b32_e32 v11, v6
	s_nop 0
	v_addc_co_u32_e32 v13, vcc, 0, v12, vcc
	v_mul_lo_u32 v12, v5, v7
	v_lshl_add_u64 v[10:11], v[10:11], 0, v[12:13]
	v_add_co_u32_e32 v1, vcc, v1, v10
	v_mul_hi_u32 v10, s2, v1
	s_nop 0
	v_addc_co_u32_e32 v5, vcc, v5, v11, vcc
	v_mul_lo_u32 v7, s2, v5
	v_add_u32_e32 v7, v10, v7
	v_mul_lo_u32 v10, s3, v1
	v_add_u32_e32 v7, v7, v10
	v_mul_lo_u32 v12, s2, v1
	v_mul_hi_u32 v15, v5, v12
	v_mul_lo_u32 v16, v5, v12
	v_mul_hi_u32 v11, v1, v7
	;; [unrolled: 2-line block ×3, first 2 shown]
	v_mov_b32_e32 v13, v6
	v_lshl_add_u64 v[10:11], v[12:13], 0, v[10:11]
	v_add_co_u32_e32 v10, vcc, v10, v16
	v_mul_hi_u32 v14, v5, v7
	s_nop 0
	v_addc_co_u32_e32 v10, vcc, v11, v15, vcc
	v_mul_lo_u32 v12, v5, v7
	s_nop 0
	v_addc_co_u32_e32 v13, vcc, 0, v14, vcc
	v_mov_b32_e32 v11, v6
	v_lshl_add_u64 v[10:11], v[10:11], 0, v[12:13]
	v_add_co_u32_e32 v1, vcc, v1, v10
	v_mul_hi_u32 v12, v8, v1
	s_nop 0
	v_addc_co_u32_e32 v5, vcc, v5, v11, vcc
	v_mad_u64_u32 v[10:11], s[2:3], v8, v5, 0
	v_mov_b32_e32 v13, v6
	v_lshl_add_u64 v[10:11], v[12:13], 0, v[10:11]
	v_mad_u64_u32 v[14:15], s[2:3], v9, v1, 0
	v_add_co_u32_e32 v1, vcc, v10, v14
	v_mad_u64_u32 v[12:13], s[2:3], v9, v5, 0
	s_nop 0
	v_addc_co_u32_e32 v10, vcc, v11, v15, vcc
	v_mov_b32_e32 v11, v6
	s_nop 0
	v_addc_co_u32_e32 v13, vcc, 0, v13, vcc
	v_lshl_add_u64 v[10:11], v[10:11], 0, v[12:13]
	v_mul_lo_u32 v1, s25, v10
	v_mul_lo_u32 v5, s24, v11
	v_mad_u64_u32 v[12:13], s[2:3], s24, v10, 0
	v_add3_u32 v1, v13, v5, v1
	v_sub_u32_e32 v5, v9, v1
	v_mov_b32_e32 v7, s25
	v_sub_co_u32_e32 v16, vcc, v8, v12
	v_lshl_add_u64 v[14:15], v[10:11], 0, 1
	s_nop 0
	v_subb_co_u32_e64 v5, s[2:3], v5, v7, vcc
	v_subrev_co_u32_e64 v7, s[2:3], s24, v16
	v_subb_co_u32_e32 v1, vcc, v9, v1, vcc
	s_nop 0
	v_subbrev_co_u32_e64 v5, s[2:3], 0, v5, s[2:3]
	v_cmp_le_u32_e64 s[2:3], s25, v5
	v_cmp_le_u32_e32 vcc, s25, v1
	s_nop 0
	v_cndmask_b32_e64 v12, 0, -1, s[2:3]
	v_cmp_le_u32_e64 s[2:3], s24, v7
	s_nop 1
	v_cndmask_b32_e64 v7, 0, -1, s[2:3]
	v_cmp_eq_u32_e64 s[2:3], s25, v5
	s_nop 1
	v_cndmask_b32_e64 v5, v12, v7, s[2:3]
	v_lshl_add_u64 v[12:13], v[10:11], 0, 2
	v_cmp_ne_u32_e64 s[2:3], 0, v5
	v_cndmask_b32_e64 v7, 0, -1, vcc
	v_cmp_le_u32_e32 vcc, s24, v16
	v_cndmask_b32_e64 v5, v15, v13, s[2:3]
	s_nop 0
	v_cndmask_b32_e64 v13, 0, -1, vcc
	v_cmp_eq_u32_e32 vcc, s25, v1
	s_nop 1
	v_cndmask_b32_e32 v1, v7, v13, vcc
	v_cmp_ne_u32_e32 vcc, 0, v1
	v_cndmask_b32_e64 v1, v14, v12, s[2:3]
	s_nop 0
	v_cndmask_b32_e32 v77, v11, v5, vcc
	v_cndmask_b32_e32 v76, v10, v1, vcc
.LBB0_4:                                ;   in Loop: Header=BB0_2 Depth=1
	s_andn2_saveexec_b64 s[2:3], s[26:27]
	s_cbranch_execz .LBB0_6
; %bb.5:                                ;   in Loop: Header=BB0_2 Depth=1
	v_cvt_f32_u32_e32 v1, s24
	s_sub_i32 s26, 0, s24
	v_mov_b32_e32 v77, v6
	v_rcp_iflag_f32_e32 v1, v1
	s_nop 0
	v_mul_f32_e32 v1, 0x4f7ffffe, v1
	v_cvt_u32_f32_e32 v1, v1
	v_mul_lo_u32 v5, s26, v1
	v_mul_hi_u32 v5, v1, v5
	v_add_u32_e32 v1, v1, v5
	v_mul_hi_u32 v1, v8, v1
	v_mul_lo_u32 v5, v1, s24
	v_sub_u32_e32 v5, v8, v5
	v_add_u32_e32 v7, 1, v1
	v_subrev_u32_e32 v10, s24, v5
	v_cmp_le_u32_e32 vcc, s24, v5
	s_nop 1
	v_cndmask_b32_e32 v5, v5, v10, vcc
	v_cndmask_b32_e32 v1, v1, v7, vcc
	v_add_u32_e32 v7, 1, v1
	v_cmp_le_u32_e32 vcc, s24, v5
	s_nop 1
	v_cndmask_b32_e32 v76, v1, v7, vcc
.LBB0_6:                                ;   in Loop: Header=BB0_2 Depth=1
	s_or_b64 exec, exec, s[2:3]
	v_mad_u64_u32 v[10:11], s[2:3], v76, s24, 0
	s_load_dwordx2 s[2:3], s[18:19], 0x0
	s_add_u32 s22, s22, 1
	v_mul_lo_u32 v1, v77, s24
	v_mul_lo_u32 v5, v76, s25
	s_load_dwordx2 s[24:25], s[16:17], 0x0
	s_addc_u32 s23, s23, 0
	v_add3_u32 v1, v11, v5, v1
	v_sub_co_u32_e32 v5, vcc, v8, v10
	s_add_u32 s16, s16, 8
	s_nop 0
	v_subb_co_u32_e32 v1, vcc, v9, v1, vcc
	s_addc_u32 s17, s17, 0
	s_waitcnt lgkmcnt(0)
	v_mul_lo_u32 v7, s2, v1
	v_mul_lo_u32 v8, s3, v5
	v_mad_u64_u32 v[2:3], s[2:3], s2, v5, v[2:3]
	s_add_u32 s18, s18, 8
	v_add3_u32 v3, v8, v3, v7
	s_addc_u32 s19, s19, 0
	v_mov_b64_e32 v[8:9], s[10:11]
	v_mul_lo_u32 v1, s24, v1
	v_mul_lo_u32 v7, s25, v5
	v_mad_u64_u32 v[72:73], s[2:3], s24, v5, v[72:73]
	s_add_u32 s20, s20, 8
	v_cmp_ge_u64_e32 vcc, s[22:23], v[8:9]
	v_add3_u32 v73, v7, v73, v1
	s_addc_u32 s21, s21, 0
	s_cbranch_vccnz .LBB0_8
; %bb.7:                                ;   in Loop: Header=BB0_2 Depth=1
	v_mov_b64_e32 v[8:9], v[76:77]
	s_branch .LBB0_2
.LBB0_8:
	s_load_dwordx2 s[18:19], s[0:1], 0x28
	s_mov_b32 s0, 0x24924925
	v_mul_hi_u32 v1, v4, s0
	v_sub_u32_e32 v5, v4, v1
	v_lshrrev_b32_e32 v5, 1, v5
	v_add_u32_e32 v1, v5, v1
	s_lshl_b64 s[16:17], s[10:11], 3
	v_lshrrev_b32_e32 v1, 2, v1
	s_add_u32 s2, s14, s16
	v_mul_lo_u32 v1, v1, 7
	s_addc_u32 s3, s15, s17
	v_sub_u32_e32 v1, v4, v1
	s_waitcnt lgkmcnt(0)
	v_cmp_gt_u64_e64 s[0:1], s[18:19], v[76:77]
	v_cmp_le_u64_e32 vcc, s[18:19], v[76:77]
                                        ; implicit-def: $vgpr74
                                        ; implicit-def: $vgpr92
                                        ; implicit-def: $vgpr90
                                        ; implicit-def: $vgpr88
                                        ; implicit-def: $vgpr86
                                        ; implicit-def: $vgpr84
                                        ; implicit-def: $vgpr82
                                        ; implicit-def: $vgpr80
                                        ; implicit-def: $vgpr78
	s_and_saveexec_b64 s[10:11], vcc
	s_xor_b64 s[10:11], exec, s[10:11]
	s_cbranch_execz .LBB0_10
; %bb.9:
	s_mov_b32 s14, 0x7878788
	v_mul_hi_u32 v2, v0, s14
	v_mul_u32_u24_e32 v2, 34, v2
	v_sub_u32_e32 v74, v0, v2
	v_add_u32_e32 v92, 34, v74
	v_add_u32_e32 v90, 0x44, v74
	;; [unrolled: 1-line block ×8, first 2 shown]
                                        ; implicit-def: $vgpr0
                                        ; implicit-def: $vgpr2_vgpr3
.LBB0_10:
	s_or_saveexec_b64 s[10:11], s[10:11]
	v_mul_u32_u24_e32 v1, 0x243, v1
	v_lshlrev_b32_e32 v81, 4, v1
	s_xor_b64 exec, exec, s[10:11]
	s_cbranch_execz .LBB0_12
; %bb.11:
	s_add_u32 s12, s12, s16
	s_addc_u32 s13, s13, s17
	s_load_dwordx2 s[12:13], s[12:13], 0x0
	s_mov_b32 s14, 0x7878788
	v_mov_b32_e32 v69, 0
	s_waitcnt lgkmcnt(0)
	v_mul_lo_u32 v1, s13, v76
	v_mul_lo_u32 v6, s12, v77
	v_mad_u64_u32 v[4:5], s[12:13], s12, v76, 0
	v_add3_u32 v5, v5, v6, v1
	v_mul_hi_u32 v1, v0, s14
	v_mul_u32_u24_e32 v1, 34, v1
	v_sub_u32_e32 v74, v0, v1
	v_lshl_add_u64 v[0:1], v[4:5], 4, s[4:5]
	v_lshl_add_u64 v[0:1], v[2:3], 4, v[0:1]
	v_lshlrev_b32_e32 v68, 4, v74
	v_lshl_add_u64 v[56:57], v[0:1], 0, v[68:69]
	s_movk_i32 s4, 0x1000
	v_add_co_u32_e32 v70, vcc, s4, v56
	global_load_dwordx4 v[0:3], v[56:57], off
	global_load_dwordx4 v[4:7], v[56:57], off offset:544
	global_load_dwordx4 v[8:11], v[56:57], off offset:1088
	;; [unrolled: 1-line block ×3, first 2 shown]
	v_addc_co_u32_e32 v71, vcc, 0, v57, vcc
	v_add_co_u32_e32 v78, vcc, 0x2000, v56
	global_load_dwordx4 v[16:19], v[56:57], off offset:2176
	global_load_dwordx4 v[20:23], v[56:57], off offset:2720
	;; [unrolled: 1-line block ×10, first 2 shown]
	v_addc_co_u32_e32 v79, vcc, 0, v57, vcc
	global_load_dwordx4 v[56:59], v[70:71], off offset:3520
	global_load_dwordx4 v[60:63], v[70:71], off offset:4064
	;; [unrolled: 1-line block ×3, first 2 shown]
	v_add_u32_e32 v92, 34, v74
	v_add_u32_e32 v90, 0x44, v74
	;; [unrolled: 1-line block ×8, first 2 shown]
	v_add3_u32 v68, 0, v81, v68
	s_waitcnt vmcnt(16)
	ds_write_b128 v68, v[0:3]
	s_waitcnt vmcnt(15)
	ds_write_b128 v68, v[4:7] offset:544
	s_waitcnt vmcnt(14)
	ds_write_b128 v68, v[8:11] offset:1088
	;; [unrolled: 2-line block ×16, first 2 shown]
.LBB0_12:
	s_or_b64 exec, exec, s[10:11]
	v_add_u32_e32 v146, 0, v81
	v_lshlrev_b32_e32 v147, 4, v74
	v_add_u32_e32 v79, v146, v147
	s_load_dwordx2 s[4:5], s[2:3], 0x0
	s_waitcnt lgkmcnt(0)
	s_barrier
	v_add3_u32 v148, 0, v147, v81
	ds_read_b128 v[60:63], v79
	ds_read_b128 v[64:67], v148 offset:544
	ds_read_b128 v[52:55], v148 offset:1088
	;; [unrolled: 1-line block ×16, first 2 shown]
	s_waitcnt lgkmcnt(14)
	v_add_f64 v[0:1], v[60:61], v[64:65]
	v_add_f64 v[2:3], v[62:63], v[66:67]
	;; [unrolled: 1-line block ×4, first 2 shown]
	s_waitcnt lgkmcnt(13)
	v_add_f64 v[0:1], v[0:1], v[44:45]
	v_add_f64 v[2:3], v[2:3], v[46:47]
	s_waitcnt lgkmcnt(12)
	v_add_f64 v[0:1], v[0:1], v[36:37]
	v_add_f64 v[2:3], v[2:3], v[38:39]
	;; [unrolled: 3-line block ×12, first 2 shown]
	s_mov_b32 s52, 0x5d8e7cdc
	s_mov_b32 s48, 0x370991
	;; [unrolled: 1-line block ×16, first 2 shown]
	s_waitcnt lgkmcnt(1)
	v_add_f64 v[0:1], v[0:1], v[56:57]
	v_add_f64 v[2:3], v[2:3], v[58:59]
	s_waitcnt lgkmcnt(0)
	v_add_f64 v[144:145], v[66:67], v[70:71]
	v_add_f64 v[142:143], v[66:67], -v[70:71]
	s_mov_b32 s53, 0xbfd71e95
	s_mov_b32 s49, 0x3fedd6d0
	;; [unrolled: 1-line block ×16, first 2 shown]
	v_add_f64 v[0:1], v[0:1], v[68:69]
	v_add_f64 v[2:3], v[2:3], v[70:71]
	;; [unrolled: 1-line block ×3, first 2 shown]
	v_add_f64 v[152:153], v[64:65], -v[68:69]
	v_mul_f64 v[68:69], v[142:143], s[52:53]
	v_mul_f64 v[70:71], v[144:145], s[48:49]
	s_mov_b32 s47, 0x3fd71e95
	s_mov_b32 s46, s52
	v_mul_f64 v[98:99], v[142:143], s[40:41]
	v_mul_f64 v[100:101], v[144:145], s[36:37]
	s_mov_b32 s35, 0x3fe58eea
	s_mov_b32 s34, s40
	;; [unrolled: 4-line block ×8, first 2 shown]
	v_fma_f64 v[64:65], s[48:49], v[150:151], v[68:69]
	v_fma_f64 v[66:67], s[46:47], v[152:153], v[70:71]
	v_fma_f64 v[68:69], v[150:151], s[48:49], -v[68:69]
	v_fmac_f64_e32 v[70:71], s[52:53], v[152:153]
	v_fma_f64 v[94:95], s[36:37], v[150:151], v[98:99]
	v_fma_f64 v[96:97], s[34:35], v[152:153], v[100:101]
	v_fma_f64 v[98:99], v[150:151], s[36:37], -v[98:99]
	v_fmac_f64_e32 v[100:101], s[40:41], v[152:153]
	;; [unrolled: 4-line block ×8, first 2 shown]
	v_add_f64 v[152:153], v[54:55], v[58:59]
	v_add_f64 v[54:55], v[54:55], -v[58:59]
	v_add_f64 v[64:65], v[60:61], v[64:65]
	v_add_f64 v[68:69], v[60:61], v[68:69]
	;; [unrolled: 1-line block ×17, first 2 shown]
	v_add_f64 v[52:53], v[52:53], -v[56:57]
	v_mul_f64 v[56:57], v[54:55], s[40:41]
	v_fma_f64 v[58:59], s[36:37], v[150:151], v[56:57]
	v_add_f64 v[58:59], v[58:59], v[64:65]
	v_mul_f64 v[64:65], v[152:153], s[36:37]
	v_fma_f64 v[56:57], v[150:151], s[36:37], -v[56:57]
	v_add_f64 v[70:71], v[62:63], v[70:71]
	v_fma_f64 v[154:155], s[34:35], v[52:53], v[64:65]
	v_add_f64 v[56:57], v[56:57], v[68:69]
	v_fmac_f64_e32 v[64:65], s[40:41], v[52:53]
	v_mul_f64 v[68:69], v[54:55], s[14:15]
	v_add_f64 v[64:65], v[64:65], v[70:71]
	v_fma_f64 v[70:71], s[12:13], v[150:151], v[68:69]
	v_add_f64 v[66:67], v[62:63], v[66:67]
	v_add_f64 v[70:71], v[70:71], v[94:95]
	v_mul_f64 v[94:95], v[152:153], s[12:13]
	v_fma_f64 v[68:69], v[150:151], s[12:13], -v[68:69]
	v_add_f64 v[100:101], v[62:63], v[100:101]
	v_add_f64 v[66:67], v[154:155], v[66:67]
	v_fma_f64 v[154:155], s[10:11], v[52:53], v[94:95]
	v_add_f64 v[68:69], v[68:69], v[98:99]
	v_fmac_f64_e32 v[94:95], s[14:15], v[52:53]
	v_mul_f64 v[98:99], v[54:55], s[28:29]
	v_add_f64 v[94:95], v[94:95], v[100:101]
	v_fma_f64 v[100:101], s[30:31], v[150:151], v[98:99]
	v_add_f64 v[96:97], v[62:63], v[96:97]
	v_add_f64 v[100:101], v[100:101], v[102:103]
	v_mul_f64 v[102:103], v[152:153], s[30:31]
	v_fma_f64 v[98:99], v[150:151], s[30:31], -v[98:99]
	v_add_f64 v[108:109], v[62:63], v[108:109]
	;; [unrolled: 12-line block ×5, first 2 shown]
	v_add_f64 v[120:121], v[154:155], v[120:121]
	v_fma_f64 v[154:155], s[16:17], v[52:53], v[126:127]
	v_add_f64 v[122:123], v[122:123], v[130:131]
	v_fmac_f64_e32 v[126:127], s[20:21], v[52:53]
	v_mul_f64 v[130:131], v[54:55], s[22:23]
	v_add_f64 v[126:127], v[126:127], v[132:133]
	v_fma_f64 v[132:133], s[24:25], v[150:151], v[130:131]
	v_add_f64 v[128:129], v[62:63], v[128:129]
	v_add_f64 v[132:133], v[132:133], v[134:135]
	v_mul_f64 v[134:135], v[152:153], s[24:25]
	v_add_f64 v[140:141], v[62:63], v[140:141]
	v_add_f64 v[128:129], v[154:155], v[128:129]
	v_fma_f64 v[154:155], s[26:27], v[52:53], v[134:135]
	v_fma_f64 v[130:131], v[150:151], s[24:25], -v[130:131]
	v_fmac_f64_e32 v[134:135], s[22:23], v[52:53]
	v_mul_f64 v[54:55], v[54:55], s[46:47]
	v_add_f64 v[130:131], v[130:131], v[138:139]
	v_add_f64 v[134:135], v[134:135], v[140:141]
	v_fma_f64 v[138:139], s[48:49], v[150:151], v[54:55]
	v_mul_f64 v[140:141], v[152:153], s[48:49]
	v_add_f64 v[136:137], v[62:63], v[136:137]
	v_add_f64 v[144:145], v[62:63], v[144:145]
	;; [unrolled: 1-line block ×4, first 2 shown]
	v_fma_f64 v[142:143], s[52:53], v[52:53], v[140:141]
	v_fmac_f64_e32 v[140:141], s[46:47], v[52:53]
	v_fma_f64 v[54:55], v[150:151], s[48:49], -v[54:55]
	v_add_f64 v[52:53], v[140:141], v[62:63]
	v_add_f64 v[62:63], v[46:47], v[50:51]
	v_add_f64 v[46:47], v[46:47], -v[50:51]
	v_add_f64 v[54:55], v[54:55], v[60:61]
	v_add_f64 v[60:61], v[44:45], v[48:49]
	v_add_f64 v[44:45], v[44:45], -v[48:49]
	v_mul_f64 v[48:49], v[46:47], s[26:27]
	v_fma_f64 v[50:51], s[24:25], v[60:61], v[48:49]
	v_add_f64 v[50:51], v[50:51], v[58:59]
	v_mul_f64 v[58:59], v[62:63], s[24:25]
	v_fma_f64 v[140:141], s[22:23], v[44:45], v[58:59]
	v_fma_f64 v[48:49], v[60:61], s[24:25], -v[48:49]
	v_fmac_f64_e32 v[58:59], s[26:27], v[44:45]
	v_add_f64 v[48:49], v[48:49], v[56:57]
	v_add_f64 v[56:57], v[58:59], v[64:65]
	v_mul_f64 v[58:59], v[46:47], s[28:29]
	v_fma_f64 v[64:65], s[30:31], v[60:61], v[58:59]
	v_add_f64 v[64:65], v[64:65], v[70:71]
	v_mul_f64 v[70:71], v[62:63], s[30:31]
	v_add_f64 v[66:67], v[140:141], v[66:67]
	v_fma_f64 v[140:141], s[38:39], v[44:45], v[70:71]
	v_fma_f64 v[58:59], v[60:61], s[30:31], -v[58:59]
	v_fmac_f64_e32 v[70:71], s[28:29], v[44:45]
	v_add_f64 v[58:59], v[58:59], v[68:69]
	v_add_f64 v[68:69], v[70:71], v[94:95]
	v_mul_f64 v[70:71], v[46:47], s[58:59]
	v_fma_f64 v[94:95], s[56:57], v[60:61], v[70:71]
	v_add_f64 v[94:95], v[94:95], v[100:101]
	v_mul_f64 v[100:101], v[62:63], s[56:57]
	v_add_f64 v[96:97], v[140:141], v[96:97]
	;; [unrolled: 10-line block ×6, first 2 shown]
	v_fma_f64 v[140:141], s[10:11], v[44:45], v[132:133]
	v_fma_f64 v[124:125], v[60:61], s[12:13], -v[124:125]
	v_fmac_f64_e32 v[132:133], s[14:15], v[44:45]
	v_mul_f64 v[46:47], v[46:47], s[42:43]
	v_add_f64 v[124:125], v[124:125], v[130:131]
	v_add_f64 v[130:131], v[132:133], v[134:135]
	v_fma_f64 v[132:133], s[44:45], v[60:61], v[46:47]
	v_mul_f64 v[62:63], v[62:63], s[44:45]
	v_fma_f64 v[46:47], v[60:61], s[44:45], -v[46:47]
	v_fma_f64 v[134:135], s[50:51], v[44:45], v[62:63]
	v_add_f64 v[46:47], v[46:47], v[54:55]
	v_fmac_f64_e32 v[62:63], s[42:43], v[44:45]
	v_add_f64 v[54:55], v[38:39], v[42:43]
	v_add_f64 v[38:39], v[38:39], -v[42:43]
	v_add_f64 v[44:45], v[62:63], v[52:53]
	v_add_f64 v[52:53], v[36:37], v[40:41]
	v_add_f64 v[36:37], v[36:37], -v[40:41]
	v_mul_f64 v[40:41], v[38:39], s[14:15]
	v_fma_f64 v[42:43], s[12:13], v[52:53], v[40:41]
	v_add_f64 v[42:43], v[42:43], v[50:51]
	v_mul_f64 v[50:51], v[54:55], s[12:13]
	v_fma_f64 v[60:61], s[10:11], v[36:37], v[50:51]
	v_fma_f64 v[40:41], v[52:53], s[12:13], -v[40:41]
	v_fmac_f64_e32 v[50:51], s[14:15], v[36:37]
	v_add_f64 v[40:41], v[40:41], v[48:49]
	v_add_f64 v[48:49], v[50:51], v[56:57]
	v_mul_f64 v[50:51], v[38:39], s[54:55]
	v_fma_f64 v[56:57], s[56:57], v[52:53], v[50:51]
	v_mul_f64 v[62:63], v[54:55], s[56:57]
	v_add_f64 v[56:57], v[56:57], v[64:65]
	v_fma_f64 v[64:65], s[58:59], v[36:37], v[62:63]
	v_fma_f64 v[50:51], v[52:53], s[56:57], -v[50:51]
	v_fmac_f64_e32 v[62:63], s[54:55], v[36:37]
	v_add_f64 v[50:51], v[50:51], v[58:59]
	v_add_f64 v[58:59], v[62:63], v[68:69]
	v_mul_f64 v[62:63], v[38:39], s[20:21]
	v_add_f64 v[60:61], v[60:61], v[66:67]
	v_fma_f64 v[66:67], s[18:19], v[52:53], v[62:63]
	v_mul_f64 v[68:69], v[54:55], s[18:19]
	v_fma_f64 v[62:63], v[52:53], s[18:19], -v[62:63]
	v_add_f64 v[66:67], v[66:67], v[94:95]
	v_fma_f64 v[94:95], s[16:17], v[36:37], v[68:69]
	v_add_f64 v[62:63], v[62:63], v[70:71]
	v_fmac_f64_e32 v[68:69], s[20:21], v[36:37]
	v_mul_f64 v[70:71], v[38:39], s[46:47]
	v_add_f64 v[64:65], v[64:65], v[96:97]
	v_add_f64 v[68:69], v[68:69], v[98:99]
	v_fma_f64 v[96:97], s[48:49], v[52:53], v[70:71]
	v_mul_f64 v[98:99], v[54:55], s[48:49]
	v_fma_f64 v[70:71], v[52:53], s[48:49], -v[70:71]
	v_add_f64 v[96:97], v[96:97], v[102:103]
	v_fma_f64 v[102:103], s[52:53], v[36:37], v[98:99]
	v_add_f64 v[70:71], v[70:71], v[100:101]
	v_fmac_f64_e32 v[98:99], s[46:47], v[36:37]
	v_mul_f64 v[100:101], v[38:39], s[26:27]
	v_add_f64 v[94:95], v[94:95], v[104:105]
	;; [unrolled: 10-line block ×3, first 2 shown]
	v_add_f64 v[106:107], v[106:107], v[114:115]
	v_fma_f64 v[112:113], s[44:45], v[52:53], v[108:109]
	v_mul_f64 v[114:115], v[54:55], s[44:45]
	v_add_f64 v[112:113], v[112:113], v[118:119]
	v_fma_f64 v[118:119], s[50:51], v[36:37], v[114:115]
	v_fma_f64 v[108:109], v[52:53], s[44:45], -v[108:109]
	v_fmac_f64_e32 v[114:115], s[42:43], v[36:37]
	v_add_f64 v[136:137], v[154:155], v[136:137]
	v_add_f64 v[142:143], v[142:143], v[144:145]
	;; [unrolled: 1-line block ×4, first 2 shown]
	v_mul_f64 v[116:117], v[38:39], s[38:39]
	v_mul_f64 v[122:123], v[54:55], s[30:31]
	;; [unrolled: 1-line block ×3, first 2 shown]
	v_add_f64 v[136:137], v[140:141], v[136:137]
	v_add_f64 v[134:135], v[134:135], v[142:143]
	;; [unrolled: 1-line block ×4, first 2 shown]
	v_fma_f64 v[120:121], s[30:31], v[52:53], v[116:117]
	v_fma_f64 v[128:129], s[40:41], v[36:37], v[54:55]
	v_add_f64 v[140:141], v[30:31], -v[34:35]
	v_add_f64 v[132:133], v[132:133], v[138:139]
	v_add_f64 v[120:121], v[120:121], v[126:127]
	v_fma_f64 v[126:127], s[28:29], v[36:37], v[122:123]
	v_add_f64 v[128:129], v[128:129], v[134:135]
	v_add_f64 v[134:135], v[28:29], v[32:33]
	v_add_f64 v[138:139], v[28:29], -v[32:33]
	v_mul_f64 v[32:33], v[140:141], s[16:17]
	v_add_f64 v[126:127], v[126:127], v[136:137]
	v_fma_f64 v[116:117], v[52:53], s[30:31], -v[116:117]
	v_mul_f64 v[38:39], v[38:39], s[34:35]
	v_add_f64 v[136:137], v[30:31], v[34:35]
	v_fma_f64 v[28:29], s[18:19], v[134:135], v[32:33]
	v_add_f64 v[116:117], v[116:117], v[124:125]
	v_fmac_f64_e32 v[122:123], s[38:39], v[36:37]
	v_fma_f64 v[124:125], s[36:37], v[52:53], v[38:39]
	v_fma_f64 v[38:39], v[52:53], s[36:37], -v[38:39]
	v_add_f64 v[28:29], v[28:29], v[42:43]
	v_fma_f64 v[32:33], v[134:135], s[18:19], -v[32:33]
	v_mul_f64 v[42:43], v[136:137], s[44:45]
	v_add_f64 v[122:123], v[122:123], v[130:131]
	v_add_f64 v[130:131], v[38:39], v[46:47]
	;; [unrolled: 1-line block ×3, first 2 shown]
	v_mul_f64 v[40:41], v[140:141], s[50:51]
	v_fma_f64 v[38:39], s[42:43], v[138:139], v[42:43]
	v_fmac_f64_e32 v[42:43], s[50:51], v[138:139]
	v_fmac_f64_e32 v[54:55], s[34:35], v[36:37]
	v_fma_f64 v[36:37], s[44:45], v[134:135], v[40:41]
	v_add_f64 v[42:43], v[42:43], v[58:59]
	v_mul_f64 v[58:59], v[136:137], s[24:25]
	v_add_f64 v[124:125], v[124:125], v[132:133]
	v_add_f64 v[132:133], v[54:55], v[44:45]
	;; [unrolled: 1-line block ×3, first 2 shown]
	v_mul_f64 v[56:57], v[140:141], s[26:27]
	v_fma_f64 v[54:55], s[22:23], v[138:139], v[58:59]
	v_fma_f64 v[52:53], s[24:25], v[134:135], v[56:57]
	v_add_f64 v[54:55], v[54:55], v[102:103]
	v_fmac_f64_e32 v[58:59], s[26:27], v[138:139]
	v_mul_f64 v[102:103], v[140:141], s[52:53]
	v_add_f64 v[52:53], v[52:53], v[96:97]
	v_fma_f64 v[56:57], v[134:135], s[24:25], -v[56:57]
	v_add_f64 v[58:59], v[58:59], v[98:99]
	v_mul_f64 v[96:97], v[136:137], s[12:13]
	v_fma_f64 v[98:99], s[48:49], v[134:135], v[102:103]
	v_fma_f64 v[102:103], v[134:135], s[48:49], -v[102:103]
	v_add_f64 v[56:57], v[56:57], v[70:71]
	v_fma_f64 v[70:71], s[14:15], v[138:139], v[96:97]
	v_fmac_f64_e32 v[96:97], s[10:11], v[138:139]
	v_add_f64 v[102:103], v[102:103], v[116:117]
	v_add_f64 v[116:117], v[22:23], v[26:27]
	v_add_f64 v[22:23], v[22:23], -v[26:27]
	v_add_f64 v[96:97], v[96:97], v[114:115]
	v_add_f64 v[114:115], v[20:21], v[24:25]
	v_add_f64 v[20:21], v[20:21], -v[24:25]
	v_mul_f64 v[24:25], v[22:23], s[28:29]
	v_mul_f64 v[34:35], v[136:137], s[18:19]
	v_fma_f64 v[26:27], s[30:31], v[114:115], v[24:25]
	v_fma_f64 v[30:31], s[20:21], v[138:139], v[34:35]
	v_fmac_f64_e32 v[34:35], s[16:17], v[138:139]
	v_add_f64 v[26:27], v[26:27], v[28:29]
	v_mul_f64 v[28:29], v[116:117], s[30:31]
	v_fma_f64 v[24:25], v[114:115], s[30:31], -v[24:25]
	v_add_f64 v[34:35], v[34:35], v[48:49]
	v_add_f64 v[70:71], v[70:71], v[118:119]
	v_fma_f64 v[118:119], s[38:39], v[20:21], v[28:29]
	v_add_f64 v[24:25], v[24:25], v[32:33]
	v_fmac_f64_e32 v[28:29], s[28:29], v[20:21]
	v_mul_f64 v[32:33], v[22:23], s[20:21]
	v_fma_f64 v[40:41], v[134:135], s[44:45], -v[40:41]
	v_add_f64 v[28:29], v[28:29], v[34:35]
	v_fma_f64 v[34:35], s[18:19], v[114:115], v[32:33]
	v_add_f64 v[30:31], v[30:31], v[60:61]
	v_add_f64 v[40:41], v[40:41], v[50:51]
	v_mul_f64 v[48:49], v[140:141], s[34:35]
	v_add_f64 v[34:35], v[34:35], v[36:37]
	v_mul_f64 v[36:37], v[116:117], s[18:19]
	v_fma_f64 v[32:33], v[114:115], s[18:19], -v[32:33]
	v_fma_f64 v[44:45], s[36:37], v[134:135], v[48:49]
	v_add_f64 v[30:31], v[118:119], v[30:31]
	v_fma_f64 v[118:119], s[16:17], v[20:21], v[36:37]
	v_add_f64 v[32:33], v[32:33], v[40:41]
	v_fmac_f64_e32 v[36:37], s[20:21], v[20:21]
	v_mul_f64 v[40:41], v[22:23], s[52:53]
	v_add_f64 v[44:45], v[44:45], v[66:67]
	v_mul_f64 v[50:51], v[136:137], s[36:37]
	v_fma_f64 v[48:49], v[134:135], s[36:37], -v[48:49]
	v_add_f64 v[36:37], v[36:37], v[42:43]
	v_fma_f64 v[42:43], s[48:49], v[114:115], v[40:41]
	v_add_f64 v[38:39], v[38:39], v[64:65]
	v_fma_f64 v[46:47], s[40:41], v[138:139], v[50:51]
	v_add_f64 v[48:49], v[48:49], v[62:63]
	v_fmac_f64_e32 v[50:51], s[34:35], v[138:139]
	v_add_f64 v[42:43], v[42:43], v[44:45]
	v_mul_f64 v[44:45], v[116:117], s[48:49]
	v_fma_f64 v[40:41], v[114:115], s[48:49], -v[40:41]
	v_add_f64 v[50:51], v[50:51], v[68:69]
	v_add_f64 v[38:39], v[118:119], v[38:39]
	v_fma_f64 v[118:119], s[46:47], v[20:21], v[44:45]
	v_add_f64 v[40:41], v[40:41], v[48:49]
	v_fmac_f64_e32 v[44:45], s[52:53], v[20:21]
	v_mul_f64 v[48:49], v[22:23], s[42:43]
	v_add_f64 v[44:45], v[44:45], v[50:51]
	v_fma_f64 v[50:51], s[44:45], v[114:115], v[48:49]
	v_add_f64 v[46:47], v[46:47], v[94:95]
	v_mul_f64 v[64:65], v[140:141], s[54:55]
	v_add_f64 v[50:51], v[50:51], v[52:53]
	v_mul_f64 v[52:53], v[116:117], s[44:45]
	v_fma_f64 v[48:49], v[114:115], s[44:45], -v[48:49]
	v_fma_f64 v[60:61], s[56:57], v[134:135], v[64:65]
	v_add_f64 v[46:47], v[118:119], v[46:47]
	v_fma_f64 v[118:119], s[50:51], v[20:21], v[52:53]
	v_add_f64 v[48:49], v[48:49], v[56:57]
	v_fmac_f64_e32 v[52:53], s[42:43], v[20:21]
	v_mul_f64 v[56:57], v[22:23], s[10:11]
	v_add_f64 v[60:61], v[60:61], v[104:105]
	v_mul_f64 v[66:67], v[136:137], s[56:57]
	v_fma_f64 v[64:65], v[134:135], s[56:57], -v[64:65]
	v_add_f64 v[52:53], v[52:53], v[58:59]
	v_fma_f64 v[58:59], s[12:13], v[114:115], v[56:57]
	v_fma_f64 v[62:63], s[58:59], v[138:139], v[66:67]
	v_add_f64 v[64:65], v[64:65], v[100:101]
	v_fmac_f64_e32 v[66:67], s[54:55], v[138:139]
	v_mul_f64 v[94:95], v[140:141], s[10:11]
	v_add_f64 v[58:59], v[58:59], v[60:61]
	v_mul_f64 v[60:61], v[116:117], s[12:13]
	v_fma_f64 v[56:57], v[114:115], s[12:13], -v[56:57]
	v_add_f64 v[66:67], v[66:67], v[106:107]
	v_fma_f64 v[68:69], s[12:13], v[134:135], v[94:95]
	v_add_f64 v[54:55], v[118:119], v[54:55]
	v_fma_f64 v[118:119], s[14:15], v[20:21], v[60:61]
	v_add_f64 v[56:57], v[56:57], v[64:65]
	v_fmac_f64_e32 v[60:61], s[10:11], v[20:21]
	v_mul_f64 v[64:65], v[22:23], s[40:41]
	v_add_f64 v[68:69], v[68:69], v[112:113]
	v_fma_f64 v[94:95], v[134:135], s[12:13], -v[94:95]
	v_add_f64 v[60:61], v[60:61], v[66:67]
	v_fma_f64 v[66:67], s[36:37], v[114:115], v[64:65]
	v_add_f64 v[62:63], v[62:63], v[110:111]
	v_add_f64 v[94:95], v[94:95], v[108:109]
	;; [unrolled: 1-line block ×3, first 2 shown]
	v_mul_f64 v[68:69], v[116:117], s[36:37]
	v_fma_f64 v[64:65], v[114:115], s[36:37], -v[64:65]
	v_mul_f64 v[104:105], v[136:137], s[48:49]
	v_mul_f64 v[110:111], v[140:141], s[28:29]
	;; [unrolled: 1-line block ×3, first 2 shown]
	v_add_f64 v[62:63], v[118:119], v[62:63]
	v_fma_f64 v[118:119], s[34:35], v[20:21], v[68:69]
	v_add_f64 v[64:65], v[64:65], v[94:95]
	v_fmac_f64_e32 v[68:69], s[40:41], v[20:21]
	v_mul_f64 v[94:95], v[22:23], s[54:55]
	v_add_f64 v[98:99], v[98:99], v[120:121]
	v_fma_f64 v[100:101], s[46:47], v[138:139], v[104:105]
	v_fmac_f64_e32 v[104:105], s[52:53], v[138:139]
	v_fma_f64 v[106:107], s[30:31], v[134:135], v[110:111]
	v_fma_f64 v[108:109], s[38:39], v[138:139], v[112:113]
	v_add_f64 v[68:69], v[68:69], v[96:97]
	v_fma_f64 v[96:97], s[56:57], v[114:115], v[94:95]
	v_fma_f64 v[94:95], v[114:115], s[56:57], -v[94:95]
	v_mul_f64 v[22:23], v[22:23], s[22:23]
	v_add_f64 v[104:105], v[104:105], v[122:123]
	v_add_f64 v[106:107], v[106:107], v[124:125]
	v_add_f64 v[108:109], v[108:109], v[128:129]
	v_add_f64 v[70:71], v[118:119], v[70:71]
	v_add_f64 v[118:119], v[96:97], v[98:99]
	v_mul_f64 v[96:97], v[116:117], s[56:57]
	v_add_f64 v[122:123], v[94:95], v[102:103]
	v_fma_f64 v[94:95], s[24:25], v[114:115], v[22:23]
	v_add_f64 v[128:129], v[14:15], -v[18:19]
	v_add_f64 v[100:101], v[100:101], v[126:127]
	v_fma_f64 v[110:111], v[134:135], s[30:31], -v[110:111]
	v_fma_f64 v[98:99], s[58:59], v[20:21], v[96:97]
	v_fmac_f64_e32 v[96:97], s[54:55], v[20:21]
	v_add_f64 v[106:107], v[94:95], v[106:107]
	v_mul_f64 v[94:95], v[116:117], s[24:25]
	v_fma_f64 v[22:23], v[114:115], s[24:25], -v[22:23]
	v_add_f64 v[114:115], v[12:13], v[16:17]
	v_add_f64 v[126:127], v[12:13], -v[16:17]
	v_mul_f64 v[12:13], v[128:129], s[42:43]
	v_add_f64 v[110:111], v[110:111], v[130:131]
	v_add_f64 v[124:125], v[96:97], v[104:105]
	v_fma_f64 v[96:97], s[26:27], v[20:21], v[94:95]
	v_fmac_f64_e32 v[94:95], s[22:23], v[20:21]
	v_add_f64 v[116:117], v[14:15], v[18:19]
	v_fma_f64 v[14:15], s[44:45], v[114:115], v[12:13]
	v_mul_f64 v[20:21], v[128:129], s[14:15]
	v_add_f64 v[110:111], v[22:23], v[110:111]
	v_add_f64 v[104:105], v[14:15], v[26:27]
	v_mul_f64 v[14:15], v[116:117], s[44:45]
	v_fma_f64 v[12:13], v[114:115], s[44:45], -v[12:13]
	v_fma_f64 v[22:23], s[12:13], v[114:115], v[20:21]
	v_add_f64 v[120:121], v[98:99], v[100:101]
	v_fma_f64 v[16:17], s[50:51], v[126:127], v[14:15]
	v_add_f64 v[100:101], v[12:13], v[24:25]
	v_fmac_f64_e32 v[14:15], s[42:43], v[126:127]
	v_mul_f64 v[12:13], v[128:129], s[22:23]
	v_add_f64 v[24:25], v[22:23], v[42:43]
	v_mul_f64 v[22:23], v[116:117], s[12:13]
	v_add_f64 v[98:99], v[14:15], v[28:29]
	v_fma_f64 v[14:15], s[24:25], v[114:115], v[12:13]
	v_fma_f64 v[26:27], s[10:11], v[126:127], v[22:23]
	v_fmac_f64_e32 v[22:23], s[14:15], v[126:127]
	v_add_f64 v[102:103], v[16:17], v[30:31]
	v_add_f64 v[16:17], v[14:15], v[34:35]
	v_mul_f64 v[14:15], v[116:117], s[24:25]
	v_add_f64 v[22:23], v[22:23], v[44:45]
	v_mul_f64 v[44:45], v[128:129], s[54:55]
	v_fma_f64 v[18:19], s[26:27], v[126:127], v[14:15]
	v_fmac_f64_e32 v[14:15], s[22:23], v[126:127]
	v_add_f64 v[26:27], v[26:27], v[46:47]
	v_mul_f64 v[28:29], v[128:129], s[38:39]
	v_fma_f64 v[46:47], s[56:57], v[114:115], v[44:45]
	v_fmac_f64_e32 v[112:113], s[28:29], v[138:139]
	v_add_f64 v[108:109], v[96:97], v[108:109]
	v_add_f64 v[14:15], v[14:15], v[36:37]
	v_fma_f64 v[30:31], s[30:31], v[114:115], v[28:29]
	v_fma_f64 v[28:29], v[114:115], s[30:31], -v[28:29]
	v_mul_f64 v[36:37], v[128:129], s[52:53]
	v_add_f64 v[96:97], v[46:47], v[66:67]
	v_mul_f64 v[46:47], v[116:117], s[56:57]
	v_add_f64 v[112:113], v[112:113], v[132:133]
	v_add_f64 v[18:19], v[18:19], v[38:39]
	v_fma_f64 v[20:21], v[114:115], s[12:13], -v[20:21]
	v_add_f64 v[28:29], v[28:29], v[48:49]
	v_fma_f64 v[38:39], s[48:49], v[114:115], v[36:37]
	v_fma_f64 v[48:49], s[58:59], v[126:127], v[46:47]
	v_fma_f64 v[44:45], v[114:115], s[56:57], -v[44:45]
	v_add_f64 v[112:113], v[94:95], v[112:113]
	v_fma_f64 v[12:13], v[114:115], s[24:25], -v[12:13]
	v_add_f64 v[20:21], v[20:21], v[40:41]
	v_add_f64 v[40:41], v[38:39], v[58:59]
	v_mul_f64 v[38:39], v[116:117], s[48:49]
	v_add_f64 v[94:95], v[48:49], v[70:71]
	v_add_f64 v[70:71], v[44:45], v[64:65]
	v_fmac_f64_e32 v[46:47], s[54:55], v[126:127]
	v_mul_f64 v[44:45], v[128:129], s[34:35]
	v_add_f64 v[12:13], v[12:13], v[32:33]
	v_add_f64 v[32:33], v[30:31], v[50:51]
	v_mul_f64 v[30:31], v[116:117], s[30:31]
	v_fma_f64 v[42:43], s[46:47], v[126:127], v[38:39]
	v_add_f64 v[68:69], v[46:47], v[68:69]
	v_fma_f64 v[46:47], s[36:37], v[114:115], v[44:45]
	v_fma_f64 v[34:35], s[28:29], v[126:127], v[30:31]
	v_add_f64 v[42:43], v[42:43], v[62:63]
	v_add_f64 v[62:63], v[46:47], v[118:119]
	v_mul_f64 v[46:47], v[116:117], s[36:37]
	v_fma_f64 v[44:45], v[114:115], s[36:37], -v[44:45]
	v_add_f64 v[34:35], v[34:35], v[54:55]
	v_fmac_f64_e32 v[30:31], s[38:39], v[126:127]
	v_fma_f64 v[36:37], v[114:115], s[48:49], -v[36:37]
	v_fma_f64 v[48:49], s[40:41], v[126:127], v[46:47]
	v_add_f64 v[54:55], v[44:45], v[122:123]
	v_fmac_f64_e32 v[46:47], s[34:35], v[126:127]
	v_mul_f64 v[44:45], v[128:129], s[16:17]
	v_add_f64 v[30:31], v[30:31], v[52:53]
	v_add_f64 v[36:37], v[36:37], v[56:57]
	;; [unrolled: 1-line block ×3, first 2 shown]
	v_fma_f64 v[46:47], s[18:19], v[114:115], v[44:45]
	v_mul_f64 v[56:57], v[116:117], s[18:19]
	v_fmac_f64_e32 v[38:39], s[52:53], v[126:127]
	v_add_f64 v[50:51], v[46:47], v[106:107]
	v_fma_f64 v[46:47], s[20:21], v[126:127], v[56:57]
	v_fma_f64 v[44:45], v[114:115], s[18:19], -v[44:45]
	v_fmac_f64_e32 v[56:57], s[16:17], v[126:127]
	v_add_f64 v[66:67], v[6:7], -v[10:11]
	v_add_f64 v[38:39], v[38:39], v[60:61]
	v_add_f64 v[60:61], v[48:49], v[120:121]
	v_add_f64 v[48:49], v[46:47], v[108:109]
	v_add_f64 v[46:47], v[44:45], v[110:111]
	v_add_f64 v[44:45], v[56:57], v[112:113]
	v_add_f64 v[58:59], v[4:5], v[8:9]
	v_add_f64 v[56:57], v[4:5], -v[8:9]
	v_mul_f64 v[4:5], v[66:67], s[54:55]
	v_add_f64 v[64:65], v[6:7], v[10:11]
	v_fma_f64 v[6:7], s[56:57], v[58:59], v[4:5]
	v_add_f64 v[8:9], v[6:7], v[104:105]
	v_mul_f64 v[6:7], v[64:65], s[56:57]
	v_fma_f64 v[10:11], s[58:59], v[56:57], v[6:7]
	v_fmac_f64_e32 v[6:7], s[54:55], v[56:57]
	v_fma_f64 v[4:5], v[58:59], s[56:57], -v[4:5]
	v_add_f64 v[6:7], v[6:7], v[98:99]
	v_mul_f64 v[98:99], v[66:67], s[46:47]
	v_add_f64 v[4:5], v[4:5], v[100:101]
	v_fma_f64 v[100:101], s[48:49], v[58:59], v[98:99]
	v_add_f64 v[16:17], v[100:101], v[16:17]
	v_mul_f64 v[100:101], v[64:65], s[48:49]
	v_fma_f64 v[98:99], v[58:59], s[48:49], -v[98:99]
	v_add_f64 v[10:11], v[10:11], v[102:103]
	v_fma_f64 v[102:103], s[52:53], v[56:57], v[100:101]
	v_add_f64 v[12:13], v[98:99], v[12:13]
	v_fmac_f64_e32 v[100:101], s[46:47], v[56:57]
	v_mul_f64 v[98:99], v[66:67], s[42:43]
	v_add_f64 v[14:15], v[100:101], v[14:15]
	v_fma_f64 v[100:101], s[44:45], v[58:59], v[98:99]
	v_add_f64 v[24:25], v[100:101], v[24:25]
	v_mul_f64 v[100:101], v[64:65], s[44:45]
	v_fma_f64 v[98:99], v[58:59], s[44:45], -v[98:99]
	v_add_f64 v[18:19], v[102:103], v[18:19]
	v_fma_f64 v[102:103], s[50:51], v[56:57], v[100:101]
	v_add_f64 v[20:21], v[98:99], v[20:21]
	v_fmac_f64_e32 v[100:101], s[42:43], v[56:57]
	;; [unrolled: 10-line block ×3, first 2 shown]
	v_mul_f64 v[98:99], v[66:67], s[28:29]
	v_add_f64 v[30:31], v[100:101], v[30:31]
	v_fma_f64 v[100:101], s[30:31], v[58:59], v[98:99]
	v_add_f64 v[40:41], v[100:101], v[40:41]
	v_mul_f64 v[100:101], v[64:65], s[30:31]
	v_add_f64 v[34:35], v[102:103], v[34:35]
	v_fma_f64 v[102:103], s[38:39], v[56:57], v[100:101]
	v_fmac_f64_e32 v[100:101], s[28:29], v[56:57]
	v_fma_f64 v[98:99], v[58:59], s[30:31], -v[98:99]
	v_add_f64 v[38:39], v[100:101], v[38:39]
	v_mul_f64 v[100:101], v[66:67], s[22:23]
	v_add_f64 v[42:43], v[102:103], v[42:43]
	v_add_f64 v[36:37], v[98:99], v[36:37]
	v_fma_f64 v[98:99], s[24:25], v[58:59], v[100:101]
	v_mul_f64 v[102:103], v[64:65], s[24:25]
	v_add_f64 v[96:97], v[98:99], v[96:97]
	v_fma_f64 v[98:99], s[26:27], v[56:57], v[102:103]
	v_add_f64 v[98:99], v[98:99], v[94:95]
	v_fma_f64 v[94:95], v[58:59], s[24:25], -v[100:101]
	v_add_f64 v[100:101], v[94:95], v[70:71]
	v_fmac_f64_e32 v[102:103], s[22:23], v[56:57]
	v_mul_f64 v[94:95], v[66:67], s[16:17]
	v_add_f64 v[102:103], v[102:103], v[68:69]
	v_fma_f64 v[68:69], s[18:19], v[58:59], v[94:95]
	v_add_f64 v[68:69], v[68:69], v[62:63]
	v_mul_f64 v[62:63], v[64:65], s[18:19]
	v_fma_f64 v[70:71], s[20:21], v[56:57], v[62:63]
	v_add_f64 v[70:71], v[70:71], v[60:61]
	v_fma_f64 v[60:61], v[58:59], s[18:19], -v[94:95]
	v_add_f64 v[60:61], v[60:61], v[54:55]
	v_fmac_f64_e32 v[62:63], s[16:17], v[56:57]
	v_mul_f64 v[54:55], v[66:67], s[10:11]
	v_add_f64 v[62:63], v[62:63], v[52:53]
	v_fma_f64 v[52:53], s[12:13], v[58:59], v[54:55]
	v_mul_f64 v[64:65], v[64:65], s[12:13]
	v_add_f64 v[50:51], v[52:53], v[50:51]
	v_fma_f64 v[52:53], s[14:15], v[56:57], v[64:65]
	v_add_f64 v[52:53], v[52:53], v[48:49]
	v_fma_f64 v[48:49], v[58:59], s[12:13], -v[54:55]
	v_fmac_f64_e32 v[64:65], s[10:11], v[56:57]
	s_movk_i32 s2, 0x110
	v_add_f64 v[46:47], v[48:49], v[46:47]
	v_add_f64 v[48:49], v[64:65], v[44:45]
	v_mad_u32_u24 v44, v74, s2, v146
	v_subrev_u32_e32 v94, 17, v74
	v_cmp_gt_u32_e64 s[2:3], 17, v74
	s_barrier
	ds_write_b128 v44, v[0:3]
	ds_write_b128 v44, v[8:11] offset:16
	ds_write_b128 v44, v[16:19] offset:32
	;; [unrolled: 1-line block ×16, first 2 shown]
	v_cndmask_b32_e64 v0, v94, v74, s[2:3]
	v_mov_b32_e32 v75, 0
	v_lshlrev_b32_e32 v56, 4, v0
	v_mov_b32_e32 v57, v75
	v_lshl_add_u64 v[4:5], v[56:57], 4, s[8:9]
	s_waitcnt lgkmcnt(0)
	s_barrier
	global_load_dwordx4 v[16:19], v[4:5], off
	global_load_dwordx4 v[12:15], v[4:5], off offset:16
	global_load_dwordx4 v[8:11], v[4:5], off offset:32
	;; [unrolled: 1-line block ×13, first 2 shown]
	v_lshl_add_u32 v113, v92, 4, v146
	ds_read_b128 v[30:33], v113
	global_load_dwordx4 v[118:121], v[4:5], off offset:240
	global_load_dwordx4 v[122:125], v[4:5], off offset:224
	v_lshl_add_u32 v112, v90, 4, v146
	v_lshl_add_u32 v111, v88, 4, v146
	ds_read_b128 v[40:43], v112
	ds_read_b128 v[126:129], v111
	v_lshl_add_u32 v110, v86, 4, v146
	v_lshl_add_u32 v109, v84, 4, v146
	ds_read_b128 v[130:133], v110
	ds_read_b128 v[134:137], v109
	;; [unrolled: 4-line block ×3, first 2 shown]
	v_lshl_add_u32 v106, v78, 4, v146
	ds_read_b128 v[150:153], v106
	ds_read_b128 v[4:7], v79
	ds_read_b128 v[154:157], v148 offset:4896
	ds_read_b128 v[158:161], v148 offset:5440
	;; [unrolled: 1-line block ×8, first 2 shown]
	v_mov_b32_e32 v57, 0x1210
	v_cmp_lt_u32_e32 vcc, 16, v74
	s_waitcnt lgkmcnt(0)
	s_barrier
	v_cndmask_b32_e32 v57, 0, v57, vcc
	v_add_u32_e32 v57, 0, v57
	v_add3_u32 v56, v57, v56, v81
	s_waitcnt vmcnt(15)
	v_mul_f64 v[70:71], v[32:33], v[18:19]
	s_waitcnt vmcnt(14)
	v_mul_f64 v[58:59], v[42:43], v[14:15]
	v_fmac_f64_e32 v[58:59], v[40:41], v[12:13]
	v_mul_f64 v[14:15], v[40:41], v[14:15]
	s_waitcnt vmcnt(12)
	v_mul_f64 v[40:41], v[132:133], v[2:3]
	v_mul_f64 v[2:3], v[130:131], v[2:3]
	v_fma_f64 v[60:61], v[42:43], v[12:13], -v[14:15]
	v_fmac_f64_e32 v[40:41], v[130:131], v[0:1]
	v_fma_f64 v[42:43], v[132:133], v[0:1], -v[2:3]
	s_waitcnt vmcnt(11)
	v_mul_f64 v[0:1], v[134:135], v[22:23]
	v_fma_f64 v[34:35], v[136:137], v[20:21], -v[0:1]
	s_waitcnt vmcnt(10)
	v_mul_f64 v[24:25], v[140:141], v[28:29]
	v_mul_f64 v[0:1], v[138:139], v[28:29]
	;; [unrolled: 1-line block ×3, first 2 shown]
	v_fmac_f64_e32 v[24:25], v[138:139], v[26:27]
	v_fma_f64 v[26:27], v[140:141], v[26:27], -v[0:1]
	s_waitcnt vmcnt(9)
	v_mul_f64 v[0:1], v[142:143], v[38:39]
	v_fma_f64 v[104:105], v[32:33], v[16:17], -v[18:19]
	v_mul_f64 v[48:49], v[128:129], v[10:11]
	v_mul_f64 v[10:11], v[126:127], v[10:11]
	v_fma_f64 v[18:19], v[144:145], v[36:37], -v[0:1]
	s_waitcnt vmcnt(8)
	v_mul_f64 v[0:1], v[150:151], v[46:47]
	v_fma_f64 v[50:51], v[128:129], v[8:9], -v[10:11]
	v_fma_f64 v[10:11], v[152:153], v[44:45], -v[0:1]
	s_waitcnt vmcnt(7)
	v_mul_f64 v[0:1], v[154:155], v[54:55]
	v_fma_f64 v[14:15], v[156:157], v[52:53], -v[0:1]
	s_waitcnt vmcnt(6)
	v_mul_f64 v[0:1], v[158:159], v[64:65]
	v_mul_f64 v[32:33], v[136:137], v[22:23]
	v_fma_f64 v[22:23], v[160:161], v[62:63], -v[0:1]
	s_waitcnt vmcnt(5)
	v_mul_f64 v[0:1], v[162:163], v[68:69]
	v_fmac_f64_e32 v[70:71], v[30:31], v[16:17]
	v_fma_f64 v[30:31], v[164:165], v[66:67], -v[0:1]
	s_waitcnt vmcnt(4)
	v_mul_f64 v[0:1], v[166:167], v[98:99]
	v_mul_f64 v[16:17], v[144:145], v[38:39]
	v_fma_f64 v[38:39], v[168:169], v[96:97], -v[0:1]
	s_waitcnt vmcnt(3)
	v_mul_f64 v[0:1], v[170:171], v[102:103]
	v_fmac_f64_e32 v[48:49], v[126:127], v[8:9]
	v_mul_f64 v[8:9], v[152:153], v[46:47]
	v_fma_f64 v[46:47], v[172:173], v[100:101], -v[0:1]
	s_waitcnt vmcnt(2)
	v_mul_f64 v[0:1], v[178:179], v[116:117]
	v_mul_f64 v[12:13], v[156:157], v[54:55]
	v_fma_f64 v[54:55], v[180:181], v[114:115], -v[0:1]
	s_waitcnt vmcnt(0)
	v_mul_f64 v[0:1], v[182:183], v[124:125]
	v_fmac_f64_e32 v[32:33], v[134:135], v[20:21]
	v_mul_f64 v[20:21], v[160:161], v[64:65]
	v_fma_f64 v[64:65], v[184:185], v[122:123], -v[0:1]
	v_mul_f64 v[0:1], v[174:175], v[120:121]
	v_add_f64 v[2:3], v[6:7], v[104:105]
	v_mul_f64 v[28:29], v[164:165], v[68:69]
	v_fma_f64 v[68:69], v[176:177], v[118:119], -v[0:1]
	v_add_f64 v[0:1], v[4:5], v[70:71]
	v_add_f64 v[2:3], v[2:3], v[60:61]
	;; [unrolled: 1-line block ×10, first 2 shown]
	v_fmac_f64_e32 v[16:17], v[142:143], v[36:37]
	v_add_f64 v[0:1], v[0:1], v[24:25]
	v_add_f64 v[2:3], v[2:3], v[18:19]
	v_fmac_f64_e32 v[8:9], v[150:151], v[44:45]
	v_add_f64 v[0:1], v[0:1], v[16:17]
	v_add_f64 v[2:3], v[2:3], v[10:11]
	v_fmac_f64_e32 v[12:13], v[154:155], v[52:53]
	v_add_f64 v[0:1], v[0:1], v[8:9]
	v_add_f64 v[2:3], v[2:3], v[14:15]
	v_fmac_f64_e32 v[20:21], v[158:159], v[62:63]
	v_add_f64 v[0:1], v[0:1], v[12:13]
	v_add_f64 v[2:3], v[2:3], v[22:23]
	v_fmac_f64_e32 v[28:29], v[162:163], v[66:67]
	v_mul_f64 v[36:37], v[168:169], v[98:99]
	v_add_f64 v[0:1], v[0:1], v[20:21]
	v_add_f64 v[2:3], v[2:3], v[30:31]
	v_fmac_f64_e32 v[36:37], v[166:167], v[96:97]
	v_mul_f64 v[44:45], v[172:173], v[102:103]
	v_add_f64 v[0:1], v[0:1], v[28:29]
	v_add_f64 v[2:3], v[2:3], v[38:39]
	v_fmac_f64_e32 v[44:45], v[170:171], v[100:101]
	v_mul_f64 v[52:53], v[180:181], v[116:117]
	v_add_f64 v[0:1], v[0:1], v[36:37]
	v_add_f64 v[2:3], v[2:3], v[46:47]
	v_fmac_f64_e32 v[52:53], v[178:179], v[114:115]
	v_mul_f64 v[62:63], v[184:185], v[124:125]
	v_add_f64 v[0:1], v[0:1], v[44:45]
	v_add_f64 v[2:3], v[2:3], v[54:55]
	v_fmac_f64_e32 v[62:63], v[182:183], v[122:123]
	v_mul_f64 v[66:67], v[176:177], v[120:121]
	v_add_f64 v[0:1], v[0:1], v[52:53]
	v_add_f64 v[2:3], v[2:3], v[64:65]
	v_fmac_f64_e32 v[66:67], v[174:175], v[118:119]
	v_add_f64 v[0:1], v[0:1], v[62:63]
	v_add_f64 v[2:3], v[2:3], v[68:69]
	;; [unrolled: 1-line block ×3, first 2 shown]
	v_add_f64 v[68:69], v[104:105], -v[68:69]
	v_add_f64 v[0:1], v[0:1], v[66:67]
	v_add_f64 v[96:97], v[70:71], v[66:67]
	v_add_f64 v[66:67], v[70:71], -v[66:67]
	v_mul_f64 v[70:71], v[68:69], s[52:53]
	v_mul_f64 v[102:103], v[98:99], s[48:49]
	;; [unrolled: 1-line block ×16, first 2 shown]
	v_fma_f64 v[100:101], s[48:49], v[96:97], v[70:71]
	v_fma_f64 v[104:105], s[46:47], v[66:67], v[102:103]
	v_fma_f64 v[70:71], v[96:97], s[48:49], -v[70:71]
	v_fmac_f64_e32 v[102:103], s[52:53], v[66:67]
	v_fma_f64 v[116:117], s[36:37], v[96:97], v[114:115]
	v_fma_f64 v[120:121], s[34:35], v[66:67], v[118:119]
	v_fma_f64 v[114:115], v[96:97], s[36:37], -v[114:115]
	v_fmac_f64_e32 v[118:119], s[40:41], v[66:67]
	;; [unrolled: 4-line block ×6, first 2 shown]
	v_fma_f64 v[160:161], s[44:45], v[96:97], v[158:159]
	v_fma_f64 v[158:159], v[96:97], s[44:45], -v[158:159]
	v_fma_f64 v[164:165], s[56:57], v[96:97], v[68:69]
	v_fma_f64 v[68:69], v[96:97], s[56:57], -v[68:69]
	v_fma_f64 v[96:97], s[50:51], v[66:67], v[162:163]
	v_fmac_f64_e32 v[162:163], s[42:43], v[66:67]
	v_fma_f64 v[166:167], s[58:59], v[66:67], v[98:99]
	v_fmac_f64_e32 v[98:99], s[54:55], v[66:67]
	v_add_f64 v[66:67], v[4:5], v[100:101]
	v_add_f64 v[100:101], v[6:7], v[104:105]
	;; [unrolled: 1-line block ×25, first 2 shown]
	v_add_f64 v[60:61], v[60:61], -v[64:65]
	v_add_f64 v[70:71], v[4:5], v[70:71]
	v_add_f64 v[114:115], v[4:5], v[114:115]
	;; [unrolled: 1-line block ×9, first 2 shown]
	v_add_f64 v[58:59], v[58:59], -v[62:63]
	v_mul_f64 v[62:63], v[60:61], s[40:41]
	v_fma_f64 v[64:65], s[36:37], v[68:69], v[62:63]
	v_add_f64 v[64:65], v[64:65], v[66:67]
	v_mul_f64 v[66:67], v[98:99], s[36:37]
	v_fma_f64 v[62:63], v[68:69], s[36:37], -v[62:63]
	v_fma_f64 v[166:167], s[34:35], v[58:59], v[66:67]
	v_add_f64 v[62:63], v[62:63], v[70:71]
	v_fmac_f64_e32 v[66:67], s[40:41], v[58:59]
	v_mul_f64 v[70:71], v[60:61], s[14:15]
	v_add_f64 v[66:67], v[66:67], v[102:103]
	v_fma_f64 v[102:103], s[12:13], v[68:69], v[70:71]
	v_add_f64 v[102:103], v[102:103], v[104:105]
	v_mul_f64 v[104:105], v[98:99], s[12:13]
	v_fma_f64 v[70:71], v[68:69], s[12:13], -v[70:71]
	v_add_f64 v[100:101], v[166:167], v[100:101]
	v_fma_f64 v[166:167], s[10:11], v[58:59], v[104:105]
	v_add_f64 v[70:71], v[70:71], v[114:115]
	v_fmac_f64_e32 v[104:105], s[14:15], v[58:59]
	v_mul_f64 v[114:115], v[60:61], s[28:29]
	v_add_f64 v[104:105], v[104:105], v[118:119]
	v_fma_f64 v[118:119], s[30:31], v[68:69], v[114:115]
	v_add_f64 v[118:119], v[118:119], v[120:121]
	v_mul_f64 v[120:121], v[98:99], s[30:31]
	v_fma_f64 v[114:115], v[68:69], s[30:31], -v[114:115]
	v_add_f64 v[116:117], v[166:167], v[116:117]
	;; [unrolled: 10-line block ×5, first 2 shown]
	v_fma_f64 v[166:167], s[16:17], v[58:59], v[144:145]
	v_add_f64 v[138:139], v[138:139], v[150:151]
	v_fmac_f64_e32 v[144:145], s[20:21], v[58:59]
	v_mul_f64 v[150:151], v[60:61], s[22:23]
	v_add_f64 v[144:145], v[144:145], v[154:155]
	v_fma_f64 v[154:155], s[24:25], v[68:69], v[150:151]
	v_fma_f64 v[150:151], v[68:69], s[24:25], -v[150:151]
	v_mul_f64 v[60:61], v[60:61], s[46:47]
	v_add_f64 v[154:155], v[154:155], v[156:157]
	v_mul_f64 v[156:157], v[98:99], s[24:25]
	v_add_f64 v[150:151], v[150:151], v[158:159]
	v_fma_f64 v[158:159], s[48:49], v[68:69], v[60:61]
	v_fma_f64 v[60:61], v[68:69], s[48:49], -v[60:61]
	v_add_f64 v[152:153], v[166:167], v[152:153]
	v_fma_f64 v[166:167], s[26:27], v[58:59], v[156:157]
	v_fmac_f64_e32 v[156:157], s[22:23], v[58:59]
	v_mul_f64 v[98:99], v[98:99], s[48:49]
	v_add_f64 v[4:5], v[60:61], v[4:5]
	v_add_f64 v[60:61], v[50:51], v[54:55]
	v_add_f64 v[50:51], v[50:51], -v[54:55]
	v_add_f64 v[156:157], v[156:157], v[160:161]
	v_fma_f64 v[160:161], s[52:53], v[58:59], v[98:99]
	v_fmac_f64_e32 v[98:99], s[46:47], v[58:59]
	v_add_f64 v[58:59], v[48:49], v[52:53]
	v_add_f64 v[48:49], v[48:49], -v[52:53]
	v_mul_f64 v[52:53], v[50:51], s[26:27]
	v_fma_f64 v[54:55], s[24:25], v[58:59], v[52:53]
	v_add_f64 v[54:55], v[54:55], v[64:65]
	v_mul_f64 v[64:65], v[60:61], s[24:25]
	v_fma_f64 v[68:69], s[22:23], v[48:49], v[64:65]
	v_fma_f64 v[52:53], v[58:59], s[24:25], -v[52:53]
	v_fmac_f64_e32 v[64:65], s[26:27], v[48:49]
	v_add_f64 v[6:7], v[98:99], v[6:7]
	v_add_f64 v[52:53], v[52:53], v[62:63]
	;; [unrolled: 1-line block ×3, first 2 shown]
	v_mul_f64 v[64:65], v[50:51], s[28:29]
	v_mul_f64 v[98:99], v[60:61], s[30:31]
	v_add_f64 v[68:69], v[68:69], v[100:101]
	v_fma_f64 v[66:67], s[30:31], v[58:59], v[64:65]
	v_fma_f64 v[100:101], s[38:39], v[48:49], v[98:99]
	v_fma_f64 v[64:65], v[58:59], s[30:31], -v[64:65]
	v_fmac_f64_e32 v[98:99], s[28:29], v[48:49]
	v_add_f64 v[64:65], v[64:65], v[70:71]
	v_add_f64 v[70:71], v[98:99], v[104:105]
	v_mul_f64 v[98:99], v[50:51], s[58:59]
	v_add_f64 v[66:67], v[66:67], v[102:103]
	v_fma_f64 v[102:103], s[56:57], v[58:59], v[98:99]
	v_fma_f64 v[98:99], v[58:59], s[56:57], -v[98:99]
	v_mul_f64 v[104:105], v[60:61], s[56:57]
	v_add_f64 v[98:99], v[98:99], v[114:115]
	v_mul_f64 v[114:115], v[50:51], s[20:21]
	v_add_f64 v[100:101], v[100:101], v[116:117]
	v_add_f64 v[102:103], v[102:103], v[118:119]
	v_fma_f64 v[116:117], s[54:55], v[48:49], v[104:105]
	v_fmac_f64_e32 v[104:105], s[58:59], v[48:49]
	v_fma_f64 v[118:119], s[18:19], v[58:59], v[114:115]
	v_fma_f64 v[114:115], v[58:59], s[18:19], -v[114:115]
	v_add_f64 v[104:105], v[104:105], v[120:121]
	v_mul_f64 v[120:121], v[60:61], s[18:19]
	v_add_f64 v[114:115], v[114:115], v[122:123]
	v_mul_f64 v[122:123], v[50:51], s[34:35]
	v_add_f64 v[116:117], v[116:117], v[124:125]
	v_add_f64 v[118:119], v[118:119], v[126:127]
	v_fma_f64 v[124:125], s[16:17], v[48:49], v[120:121]
	v_fmac_f64_e32 v[120:121], s[20:21], v[48:49]
	v_fma_f64 v[126:127], s[36:37], v[58:59], v[122:123]
	v_fma_f64 v[122:123], v[58:59], s[36:37], -v[122:123]
	v_add_f64 v[120:121], v[120:121], v[128:129]
	;; [unrolled: 10-line block ×3, first 2 shown]
	v_mul_f64 v[136:137], v[60:61], s[48:49]
	v_add_f64 v[130:131], v[130:131], v[138:139]
	v_mul_f64 v[138:139], v[50:51], s[14:15]
	v_add_f64 v[132:133], v[132:133], v[140:141]
	v_add_f64 v[134:135], v[134:135], v[142:143]
	v_fma_f64 v[140:141], s[46:47], v[48:49], v[136:137]
	v_fmac_f64_e32 v[136:137], s[52:53], v[48:49]
	v_fma_f64 v[142:143], s[12:13], v[58:59], v[138:139]
	v_fma_f64 v[138:139], v[58:59], s[12:13], -v[138:139]
	v_mul_f64 v[50:51], v[50:51], s[42:43]
	v_add_f64 v[136:137], v[136:137], v[144:145]
	v_mul_f64 v[144:145], v[60:61], s[12:13]
	v_add_f64 v[138:139], v[138:139], v[150:151]
	v_fma_f64 v[150:151], s[44:45], v[58:59], v[50:51]
	v_fma_f64 v[50:51], v[58:59], s[44:45], -v[50:51]
	v_add_f64 v[96:97], v[166:167], v[96:97]
	v_add_f64 v[140:141], v[140:141], v[152:153]
	v_fma_f64 v[152:153], s[10:11], v[48:49], v[144:145]
	v_mul_f64 v[60:61], v[60:61], s[44:45]
	v_add_f64 v[4:5], v[50:51], v[4:5]
	v_add_f64 v[50:51], v[42:43], v[46:47]
	v_add_f64 v[42:43], v[42:43], -v[46:47]
	v_add_f64 v[96:97], v[152:153], v[96:97]
	v_fmac_f64_e32 v[144:145], s[14:15], v[48:49]
	v_fma_f64 v[152:153], s[50:51], v[48:49], v[60:61]
	v_fmac_f64_e32 v[60:61], s[42:43], v[48:49]
	v_add_f64 v[48:49], v[40:41], v[44:45]
	v_add_f64 v[40:41], v[40:41], -v[44:45]
	v_mul_f64 v[44:45], v[42:43], s[14:15]
	v_fma_f64 v[46:47], s[12:13], v[48:49], v[44:45]
	v_add_f64 v[46:47], v[46:47], v[54:55]
	v_mul_f64 v[54:55], v[50:51], s[12:13]
	v_fma_f64 v[58:59], s[10:11], v[40:41], v[54:55]
	v_fma_f64 v[44:45], v[48:49], s[12:13], -v[44:45]
	v_fmac_f64_e32 v[54:55], s[14:15], v[40:41]
	v_add_f64 v[44:45], v[44:45], v[52:53]
	v_add_f64 v[52:53], v[54:55], v[62:63]
	v_mul_f64 v[54:55], v[42:43], s[54:55]
	v_add_f64 v[6:7], v[60:61], v[6:7]
	v_fma_f64 v[60:61], s[56:57], v[48:49], v[54:55]
	v_fma_f64 v[54:55], v[48:49], s[56:57], -v[54:55]
	v_mul_f64 v[62:63], v[50:51], s[56:57]
	v_add_f64 v[54:55], v[54:55], v[64:65]
	v_mul_f64 v[64:65], v[42:43], s[20:21]
	v_add_f64 v[58:59], v[58:59], v[68:69]
	v_add_f64 v[60:61], v[60:61], v[66:67]
	v_fma_f64 v[66:67], s[58:59], v[40:41], v[62:63]
	v_fmac_f64_e32 v[62:63], s[54:55], v[40:41]
	v_fma_f64 v[68:69], s[18:19], v[48:49], v[64:65]
	v_fma_f64 v[64:65], v[48:49], s[18:19], -v[64:65]
	v_add_f64 v[62:63], v[62:63], v[70:71]
	v_mul_f64 v[70:71], v[50:51], s[18:19]
	v_add_f64 v[64:65], v[64:65], v[98:99]
	v_mul_f64 v[98:99], v[42:43], s[46:47]
	v_add_f64 v[66:67], v[66:67], v[100:101]
	v_add_f64 v[68:69], v[68:69], v[102:103]
	v_fma_f64 v[100:101], s[16:17], v[40:41], v[70:71]
	v_fmac_f64_e32 v[70:71], s[20:21], v[40:41]
	v_fma_f64 v[102:103], s[48:49], v[48:49], v[98:99]
	v_fma_f64 v[98:99], v[48:49], s[48:49], -v[98:99]
	v_add_f64 v[70:71], v[70:71], v[104:105]
	;; [unrolled: 10-line block ×4, first 2 shown]
	v_mul_f64 v[128:129], v[50:51], s[44:45]
	v_add_f64 v[122:123], v[122:123], v[130:131]
	v_mul_f64 v[130:131], v[42:43], s[38:39]
	v_add_f64 v[124:125], v[124:125], v[132:133]
	v_add_f64 v[126:127], v[126:127], v[134:135]
	v_fma_f64 v[132:133], s[50:51], v[40:41], v[128:129]
	v_fmac_f64_e32 v[128:129], s[42:43], v[40:41]
	v_fma_f64 v[134:135], s[30:31], v[48:49], v[130:131]
	v_fma_f64 v[130:131], v[48:49], s[30:31], -v[130:131]
	v_mul_f64 v[42:43], v[42:43], s[34:35]
	v_add_f64 v[128:129], v[128:129], v[136:137]
	v_mul_f64 v[136:137], v[50:51], s[30:31]
	v_add_f64 v[130:131], v[130:131], v[138:139]
	v_fma_f64 v[138:139], s[36:37], v[48:49], v[42:43]
	v_fma_f64 v[42:43], v[48:49], s[36:37], -v[42:43]
	v_add_f64 v[132:133], v[132:133], v[140:141]
	v_fma_f64 v[140:141], s[28:29], v[40:41], v[136:137]
	v_mul_f64 v[50:51], v[50:51], s[36:37]
	v_add_f64 v[4:5], v[42:43], v[4:5]
	v_add_f64 v[42:43], v[34:35], v[38:39]
	v_add_f64 v[34:35], v[34:35], -v[38:39]
	v_add_f64 v[96:97], v[140:141], v[96:97]
	v_fmac_f64_e32 v[136:137], s[38:39], v[40:41]
	v_fma_f64 v[140:141], s[40:41], v[40:41], v[50:51]
	v_fmac_f64_e32 v[50:51], s[34:35], v[40:41]
	v_add_f64 v[40:41], v[32:33], v[36:37]
	v_add_f64 v[32:33], v[32:33], -v[36:37]
	v_mul_f64 v[36:37], v[34:35], s[16:17]
	v_fma_f64 v[38:39], s[18:19], v[40:41], v[36:37]
	v_add_f64 v[38:39], v[38:39], v[46:47]
	v_mul_f64 v[46:47], v[42:43], s[18:19]
	v_fma_f64 v[48:49], s[20:21], v[32:33], v[46:47]
	v_fma_f64 v[36:37], v[40:41], s[18:19], -v[36:37]
	v_fmac_f64_e32 v[46:47], s[16:17], v[32:33]
	v_add_f64 v[36:37], v[36:37], v[44:45]
	v_add_f64 v[44:45], v[46:47], v[52:53]
	v_mul_f64 v[46:47], v[34:35], s[50:51]
	v_add_f64 v[6:7], v[50:51], v[6:7]
	v_fma_f64 v[50:51], s[44:45], v[40:41], v[46:47]
	v_fma_f64 v[46:47], v[40:41], s[44:45], -v[46:47]
	v_mul_f64 v[52:53], v[42:43], s[44:45]
	v_add_f64 v[46:47], v[46:47], v[54:55]
	v_mul_f64 v[54:55], v[34:35], s[34:35]
	v_add_f64 v[48:49], v[48:49], v[58:59]
	v_add_f64 v[50:51], v[50:51], v[60:61]
	v_fma_f64 v[58:59], s[42:43], v[32:33], v[52:53]
	v_fmac_f64_e32 v[52:53], s[50:51], v[32:33]
	v_fma_f64 v[60:61], s[36:37], v[40:41], v[54:55]
	v_fma_f64 v[54:55], v[40:41], s[36:37], -v[54:55]
	v_add_f64 v[52:53], v[52:53], v[62:63]
	v_mul_f64 v[62:63], v[42:43], s[36:37]
	v_add_f64 v[54:55], v[54:55], v[64:65]
	v_mul_f64 v[64:65], v[34:35], s[26:27]
	v_add_f64 v[58:59], v[58:59], v[66:67]
	v_add_f64 v[60:61], v[60:61], v[68:69]
	v_fma_f64 v[66:67], s[40:41], v[32:33], v[62:63]
	v_fmac_f64_e32 v[62:63], s[34:35], v[32:33]
	v_fma_f64 v[68:69], s[24:25], v[40:41], v[64:65]
	v_fma_f64 v[64:65], v[40:41], s[24:25], -v[64:65]
	v_add_f64 v[62:63], v[62:63], v[70:71]
	;; [unrolled: 10-line block ×4, first 2 shown]
	v_mul_f64 v[120:121], v[42:43], s[12:13]
	v_add_f64 v[114:115], v[114:115], v[122:123]
	v_mul_f64 v[122:123], v[34:35], s[52:53]
	v_add_f64 v[116:117], v[116:117], v[124:125]
	v_add_f64 v[118:119], v[118:119], v[126:127]
	v_fma_f64 v[124:125], s[14:15], v[32:33], v[120:121]
	v_fmac_f64_e32 v[120:121], s[10:11], v[32:33]
	v_fma_f64 v[126:127], s[48:49], v[40:41], v[122:123]
	v_fma_f64 v[122:123], v[40:41], s[48:49], -v[122:123]
	v_mul_f64 v[34:35], v[34:35], s[28:29]
	v_add_f64 v[120:121], v[120:121], v[128:129]
	v_mul_f64 v[128:129], v[42:43], s[48:49]
	v_add_f64 v[122:123], v[122:123], v[130:131]
	v_fma_f64 v[130:131], s[30:31], v[40:41], v[34:35]
	v_fma_f64 v[34:35], v[40:41], s[30:31], -v[34:35]
	v_add_f64 v[124:125], v[124:125], v[132:133]
	v_fma_f64 v[132:133], s[46:47], v[32:33], v[128:129]
	v_mul_f64 v[42:43], v[42:43], s[30:31]
	v_add_f64 v[4:5], v[34:35], v[4:5]
	v_add_f64 v[34:35], v[26:27], v[30:31]
	v_add_f64 v[26:27], v[26:27], -v[30:31]
	v_add_f64 v[96:97], v[132:133], v[96:97]
	v_fmac_f64_e32 v[128:129], s[52:53], v[32:33]
	v_fma_f64 v[132:133], s[38:39], v[32:33], v[42:43]
	v_fmac_f64_e32 v[42:43], s[28:29], v[32:33]
	v_add_f64 v[32:33], v[24:25], v[28:29]
	v_add_f64 v[24:25], v[24:25], -v[28:29]
	v_mul_f64 v[28:29], v[26:27], s[28:29]
	v_fma_f64 v[30:31], s[30:31], v[32:33], v[28:29]
	v_add_f64 v[30:31], v[30:31], v[38:39]
	v_mul_f64 v[38:39], v[34:35], s[30:31]
	v_fma_f64 v[40:41], s[38:39], v[24:25], v[38:39]
	v_fma_f64 v[28:29], v[32:33], s[30:31], -v[28:29]
	v_fmac_f64_e32 v[38:39], s[28:29], v[24:25]
	v_add_f64 v[28:29], v[28:29], v[36:37]
	v_add_f64 v[36:37], v[38:39], v[44:45]
	v_mul_f64 v[38:39], v[26:27], s[20:21]
	v_add_f64 v[6:7], v[42:43], v[6:7]
	v_fma_f64 v[42:43], s[18:19], v[32:33], v[38:39]
	v_fma_f64 v[38:39], v[32:33], s[18:19], -v[38:39]
	v_mul_f64 v[44:45], v[34:35], s[18:19]
	v_add_f64 v[38:39], v[38:39], v[46:47]
	v_mul_f64 v[46:47], v[26:27], s[52:53]
	v_add_f64 v[40:41], v[40:41], v[48:49]
	v_add_f64 v[42:43], v[42:43], v[50:51]
	v_fma_f64 v[48:49], s[16:17], v[24:25], v[44:45]
	v_fmac_f64_e32 v[44:45], s[20:21], v[24:25]
	v_fma_f64 v[50:51], s[48:49], v[32:33], v[46:47]
	v_fma_f64 v[46:47], v[32:33], s[48:49], -v[46:47]
	v_add_f64 v[44:45], v[44:45], v[52:53]
	v_mul_f64 v[52:53], v[34:35], s[48:49]
	v_add_f64 v[46:47], v[46:47], v[54:55]
	v_mul_f64 v[54:55], v[26:27], s[42:43]
	v_add_f64 v[48:49], v[48:49], v[58:59]
	v_add_f64 v[50:51], v[50:51], v[60:61]
	v_fma_f64 v[58:59], s[46:47], v[24:25], v[52:53]
	v_fmac_f64_e32 v[52:53], s[52:53], v[24:25]
	v_fma_f64 v[60:61], s[44:45], v[32:33], v[54:55]
	v_fma_f64 v[54:55], v[32:33], s[44:45], -v[54:55]
	v_add_f64 v[52:53], v[52:53], v[62:63]
	;; [unrolled: 10-line block ×3, first 2 shown]
	v_mul_f64 v[70:71], v[34:35], s[12:13]
	v_add_f64 v[64:65], v[64:65], v[98:99]
	v_mul_f64 v[98:99], v[26:27], s[40:41]
	v_add_f64 v[66:67], v[66:67], v[100:101]
	v_add_f64 v[68:69], v[68:69], v[102:103]
	v_fma_f64 v[100:101], s[14:15], v[24:25], v[70:71]
	v_fma_f64 v[102:103], s[36:37], v[32:33], v[98:99]
	v_add_f64 v[100:101], v[100:101], v[116:117]
	v_fmac_f64_e32 v[70:71], s[10:11], v[24:25]
	v_add_f64 v[116:117], v[102:103], v[118:119]
	v_mul_f64 v[102:103], v[34:35], s[36:37]
	v_add_f64 v[158:159], v[158:159], v[162:163]
	v_add_f64 v[160:161], v[160:161], v[164:165]
	;; [unrolled: 1-line block ×4, first 2 shown]
	v_fma_f64 v[104:105], s[34:35], v[24:25], v[102:103]
	v_fma_f64 v[98:99], v[32:33], s[36:37], -v[98:99]
	v_fmac_f64_e32 v[102:103], s[40:41], v[24:25]
	v_add_f64 v[150:151], v[150:151], v[158:159]
	v_add_f64 v[152:153], v[152:153], v[160:161]
	;; [unrolled: 1-line block ×5, first 2 shown]
	v_mul_f64 v[102:103], v[26:27], s[54:55]
	v_add_f64 v[144:145], v[144:145], v[156:157]
	v_add_f64 v[138:139], v[138:139], v[150:151]
	;; [unrolled: 1-line block ×5, first 2 shown]
	v_fma_f64 v[104:105], s[56:57], v[32:33], v[102:103]
	v_fma_f64 v[102:103], v[32:33], s[56:57], -v[102:103]
	v_mul_f64 v[26:27], v[26:27], s[22:23]
	v_add_f64 v[136:137], v[136:137], v[144:145]
	v_add_f64 v[130:131], v[130:131], v[138:139]
	;; [unrolled: 1-line block ×4, first 2 shown]
	v_mul_f64 v[104:105], v[34:35], s[56:57]
	v_add_f64 v[122:123], v[102:103], v[122:123]
	v_fma_f64 v[102:103], s[24:25], v[32:33], v[26:27]
	v_mul_f64 v[34:35], v[34:35], s[24:25]
	v_fma_f64 v[26:27], v[32:33], s[24:25], -v[26:27]
	v_add_f64 v[140:141], v[18:19], -v[22:23]
	v_add_f64 v[128:129], v[128:129], v[136:137]
	v_fma_f64 v[124:125], s[58:59], v[24:25], v[104:105]
	v_fmac_f64_e32 v[104:105], s[54:55], v[24:25]
	v_add_f64 v[126:127], v[102:103], v[130:131]
	v_fma_f64 v[102:103], s[26:27], v[24:25], v[34:35]
	v_add_f64 v[130:131], v[26:27], v[4:5]
	v_fmac_f64_e32 v[34:35], s[22:23], v[24:25]
	v_add_f64 v[134:135], v[16:17], v[20:21]
	v_add_f64 v[136:137], v[18:19], v[22:23]
	v_mul_f64 v[4:5], v[140:141], s[42:43]
	v_add_f64 v[96:97], v[124:125], v[96:97]
	v_add_f64 v[124:125], v[104:105], v[128:129]
	;; [unrolled: 1-line block ×4, first 2 shown]
	v_add_f64 v[138:139], v[16:17], -v[20:21]
	v_fma_f64 v[6:7], s[44:45], v[134:135], v[4:5]
	v_mul_f64 v[22:23], v[136:137], s[24:25]
	v_add_f64 v[142:143], v[6:7], v[30:31]
	v_mul_f64 v[6:7], v[136:137], s[44:45]
	v_fma_f64 v[18:19], s[26:27], v[138:139], v[22:23]
	v_fmac_f64_e32 v[22:23], s[22:23], v[138:139]
	v_mul_f64 v[26:27], v[136:137], s[12:13]
	v_fma_f64 v[16:17], s[50:51], v[138:139], v[6:7]
	v_fma_f64 v[4:5], v[134:135], s[44:45], -v[4:5]
	v_mul_f64 v[20:21], v[140:141], s[22:23]
	v_add_f64 v[102:103], v[22:23], v[44:45]
	v_fma_f64 v[22:23], s[10:11], v[138:139], v[26:27]
	v_mul_f64 v[32:33], v[140:141], s[38:39]
	v_add_f64 v[144:145], v[16:17], v[40:41]
	v_add_f64 v[4:5], v[4:5], v[28:29]
	v_fmac_f64_e32 v[6:7], s[42:43], v[138:139]
	v_fma_f64 v[16:17], s[24:25], v[134:135], v[20:21]
	v_add_f64 v[22:23], v[22:23], v[58:59]
	v_fmac_f64_e32 v[26:27], s[14:15], v[138:139]
	v_fma_f64 v[28:29], s[30:31], v[134:135], v[32:33]
	v_mul_f64 v[40:41], v[140:141], s[52:53]
	v_mul_f64 v[58:59], v[140:141], s[34:35]
	v_add_f64 v[6:7], v[6:7], v[36:37]
	v_add_f64 v[16:17], v[16:17], v[42:43]
	v_fma_f64 v[20:21], v[134:135], s[24:25], -v[20:21]
	v_add_f64 v[26:27], v[26:27], v[52:53]
	v_add_f64 v[28:29], v[28:29], v[60:61]
	v_mul_f64 v[34:35], v[136:137], s[30:31]
	v_fma_f64 v[32:33], v[134:135], s[30:31], -v[32:33]
	v_fma_f64 v[36:37], s[48:49], v[134:135], v[40:41]
	v_mul_f64 v[42:43], v[136:137], s[48:49]
	v_fma_f64 v[52:53], s[36:37], v[134:135], v[58:59]
	v_mul_f64 v[60:61], v[136:137], s[36:37]
	v_fma_f64 v[58:59], v[134:135], s[36:37], -v[58:59]
	v_add_f64 v[104:105], v[20:21], v[38:39]
	v_fma_f64 v[30:31], s[28:29], v[138:139], v[34:35]
	v_add_f64 v[32:33], v[32:33], v[54:55]
	v_add_f64 v[36:37], v[36:37], v[68:69]
	v_fma_f64 v[38:39], s[46:47], v[138:139], v[42:43]
	v_fmac_f64_e32 v[42:43], s[52:53], v[138:139]
	v_fma_f64 v[54:55], s[40:41], v[138:139], v[60:61]
	v_add_f64 v[68:69], v[58:59], v[122:123]
	v_fmac_f64_e32 v[60:61], s[34:35], v[138:139]
	v_mul_f64 v[58:59], v[140:141], s[16:17]
	v_add_f64 v[18:19], v[18:19], v[48:49]
	v_add_f64 v[30:31], v[30:31], v[66:67]
	v_fma_f64 v[40:41], v[134:135], s[48:49], -v[40:41]
	v_add_f64 v[42:43], v[42:43], v[70:71]
	v_mul_f64 v[48:49], v[140:141], s[54:55]
	v_add_f64 v[66:67], v[60:61], v[124:125]
	v_fma_f64 v[60:61], s[18:19], v[134:135], v[58:59]
	v_mul_f64 v[70:71], v[136:137], s[18:19]
	v_fmac_f64_e32 v[34:35], s[38:39], v[138:139]
	v_add_f64 v[38:39], v[38:39], v[100:101]
	v_add_f64 v[40:41], v[40:41], v[64:65]
	v_fma_f64 v[44:45], s[56:57], v[134:135], v[48:49]
	v_fma_f64 v[48:49], v[134:135], s[56:57], -v[48:49]
	v_add_f64 v[64:65], v[60:61], v[126:127]
	v_fma_f64 v[60:61], s[20:21], v[138:139], v[70:71]
	v_fma_f64 v[58:59], v[134:135], s[18:19], -v[58:59]
	v_fmac_f64_e32 v[70:71], s[16:17], v[138:139]
	v_add_f64 v[100:101], v[10:11], -v[14:15]
	v_add_f64 v[34:35], v[34:35], v[62:63]
	v_add_f64 v[48:49], v[48:49], v[98:99]
	;; [unrolled: 1-line block ×8, first 2 shown]
	v_add_f64 v[70:71], v[8:9], -v[12:13]
	v_mul_f64 v[12:13], v[100:101], s[54:55]
	v_mul_f64 v[24:25], v[140:141], s[14:15]
	v_fma_f64 v[8:9], s[56:57], v[96:97], v[12:13]
	v_mul_f64 v[14:15], v[98:99], s[56:57]
	v_fma_f64 v[12:13], v[96:97], s[56:57], -v[12:13]
	v_fma_f64 v[20:21], s[12:13], v[134:135], v[24:25]
	v_fma_f64 v[10:11], s[58:59], v[70:71], v[14:15]
	v_add_f64 v[4:5], v[12:13], v[4:5]
	v_fmac_f64_e32 v[14:15], s[54:55], v[70:71]
	v_mul_f64 v[12:13], v[100:101], s[46:47]
	v_add_f64 v[20:21], v[20:21], v[50:51]
	v_fma_f64 v[24:25], v[134:135], s[12:13], -v[24:25]
	v_mul_f64 v[50:51], v[136:137], s[56:57]
	v_add_f64 v[6:7], v[14:15], v[6:7]
	v_fma_f64 v[14:15], s[48:49], v[96:97], v[12:13]
	v_add_f64 v[24:25], v[24:25], v[46:47]
	v_fma_f64 v[46:47], s[58:59], v[138:139], v[50:51]
	v_fmac_f64_e32 v[50:51], s[54:55], v[138:139]
	v_add_f64 v[16:17], v[14:15], v[16:17]
	v_mul_f64 v[14:15], v[98:99], s[48:49]
	v_add_f64 v[50:51], v[50:51], v[114:115]
	v_fma_f64 v[114:115], s[52:53], v[70:71], v[14:15]
	v_fmac_f64_e32 v[14:15], s[46:47], v[70:71]
	v_fma_f64 v[12:13], v[96:97], s[48:49], -v[12:13]
	v_add_f64 v[14:15], v[14:15], v[102:103]
	v_mul_f64 v[102:103], v[100:101], s[42:43]
	v_add_f64 v[12:13], v[12:13], v[104:105]
	v_fma_f64 v[104:105], s[44:45], v[96:97], v[102:103]
	v_add_f64 v[20:21], v[104:105], v[20:21]
	v_mul_f64 v[104:105], v[98:99], s[44:45]
	v_fma_f64 v[102:103], v[96:97], s[44:45], -v[102:103]
	v_add_f64 v[18:19], v[114:115], v[18:19]
	v_fma_f64 v[114:115], s[50:51], v[70:71], v[104:105]
	v_add_f64 v[24:25], v[102:103], v[24:25]
	v_fmac_f64_e32 v[104:105], s[42:43], v[70:71]
	v_mul_f64 v[102:103], v[100:101], s[34:35]
	v_add_f64 v[26:27], v[104:105], v[26:27]
	v_fma_f64 v[104:105], s[36:37], v[96:97], v[102:103]
	v_add_f64 v[28:29], v[104:105], v[28:29]
	v_mul_f64 v[104:105], v[98:99], s[36:37]
	v_fma_f64 v[102:103], v[96:97], s[36:37], -v[102:103]
	v_add_f64 v[22:23], v[114:115], v[22:23]
	v_fma_f64 v[114:115], s[40:41], v[70:71], v[104:105]
	v_add_f64 v[32:33], v[102:103], v[32:33]
	v_fmac_f64_e32 v[104:105], s[34:35], v[70:71]
	;; [unrolled: 10-line block ×3, first 2 shown]
	v_mul_f64 v[102:103], v[100:101], s[22:23]
	v_add_f64 v[44:45], v[44:45], v[116:117]
	v_add_f64 v[42:43], v[104:105], v[42:43]
	v_fma_f64 v[104:105], s[24:25], v[96:97], v[102:103]
	v_add_f64 v[44:45], v[104:105], v[44:45]
	v_mul_f64 v[104:105], v[98:99], s[24:25]
	v_fma_f64 v[102:103], v[96:97], s[24:25], -v[102:103]
	v_add_f64 v[38:39], v[114:115], v[38:39]
	v_fma_f64 v[114:115], s[26:27], v[70:71], v[104:105]
	v_add_f64 v[48:49], v[102:103], v[48:49]
	v_fmac_f64_e32 v[104:105], s[22:23], v[70:71]
	v_mul_f64 v[102:103], v[100:101], s[16:17]
	v_add_f64 v[52:53], v[52:53], v[120:121]
	v_add_f64 v[50:51], v[104:105], v[50:51]
	v_fma_f64 v[104:105], s[18:19], v[96:97], v[102:103]
	v_add_f64 v[46:47], v[46:47], v[118:119]
	v_add_f64 v[52:53], v[104:105], v[52:53]
	v_mul_f64 v[104:105], v[98:99], s[18:19]
	v_fma_f64 v[102:103], v[96:97], s[18:19], -v[102:103]
	v_add_f64 v[46:47], v[114:115], v[46:47]
	v_fma_f64 v[114:115], s[20:21], v[70:71], v[104:105]
	v_add_f64 v[102:103], v[102:103], v[68:69]
	v_fmac_f64_e32 v[104:105], s[16:17], v[70:71]
	v_mul_f64 v[68:69], v[100:101], s[10:11]
	v_add_f64 v[104:105], v[104:105], v[66:67]
	v_fma_f64 v[66:67], s[12:13], v[96:97], v[68:69]
	v_mul_f64 v[98:99], v[98:99], s[12:13]
	v_add_f64 v[64:65], v[66:67], v[64:65]
	v_fma_f64 v[66:67], s[14:15], v[70:71], v[98:99]
	v_add_f64 v[66:67], v[66:67], v[62:63]
	v_fma_f64 v[62:63], v[96:97], s[12:13], -v[68:69]
	v_fmac_f64_e32 v[98:99], s[10:11], v[70:71]
	v_add_f64 v[8:9], v[8:9], v[142:143]
	v_add_f64 v[10:11], v[10:11], v[144:145]
	;; [unrolled: 1-line block ×5, first 2 shown]
	ds_write_b128 v56, v[0:3]
	ds_write_b128 v56, v[8:11] offset:272
	ds_write_b128 v56, v[16:19] offset:544
	;; [unrolled: 1-line block ×16, first 2 shown]
	s_waitcnt lgkmcnt(0)
	s_barrier
	ds_read_b128 v[32:35], v79
	ds_read_b128 v[68:71], v148 offset:4624
	ds_read_b128 v[40:43], v148 offset:5168
	;; [unrolled: 1-line block ×3, first 2 shown]
	ds_read_b128 v[28:31], v112
	ds_read_b128 v[24:27], v111
	ds_read_b128 v[48:51], v148 offset:6256
	ds_read_b128 v[52:55], v148 offset:6800
	ds_read_b128 v[20:23], v110
	ds_read_b128 v[16:19], v109
	ds_read_b128 v[56:59], v148 offset:7344
	ds_read_b128 v[60:63], v148 offset:7888
	ds_read_b128 v[12:15], v108
	ds_read_b128 v[8:11], v107
	;; [unrolled: 1-line block ×3, first 2 shown]
	ds_read_b128 v[64:67], v148 offset:8432
                                        ; implicit-def: $vgpr2_vgpr3
	s_and_saveexec_b64 s[10:11], s[2:3]
	s_cbranch_execz .LBB0_14
; %bb.13:
	ds_read_b128 v[4:7], v106
	ds_read_b128 v[0:3], v148 offset:8976
	v_mov_b32_e32 v94, v78
.LBB0_14:
	s_or_b64 exec, exec, s[10:11]
	v_lshl_add_u64 v[96:97], v[74:75], 4, s[8:9]
	s_movk_i32 s10, 0x1000
	v_add_co_u32_e32 v104, vcc, s10, v96
	v_mov_b32_e32 v93, v75
	s_nop 0
	v_addc_co_u32_e32 v105, vcc, 0, v97, vcc
	v_lshl_add_u64 v[96:97], v[92:93], 4, s[8:9]
	v_add_co_u32_e32 v114, vcc, s10, v96
	v_mov_b32_e32 v91, v75
	s_nop 0
	v_addc_co_u32_e32 v115, vcc, 0, v97, vcc
	global_load_dwordx4 v[96:99], v[104:105], off offset:256
	global_load_dwordx4 v[100:103], v[114:115], off offset:256
	v_lshl_add_u64 v[104:105], v[90:91], 4, s[8:9]
	v_add_co_u32_e32 v104, vcc, s10, v104
	v_mov_b32_e32 v89, v75
	s_nop 0
	v_addc_co_u32_e32 v105, vcc, 0, v105, vcc
	v_lshl_add_u64 v[114:115], v[88:89], 4, s[8:9]
	v_add_co_u32_e32 v122, vcc, s10, v114
	v_mov_b32_e32 v87, v75
	s_nop 0
	v_addc_co_u32_e32 v123, vcc, 0, v115, vcc
	global_load_dwordx4 v[114:117], v[104:105], off offset:256
	global_load_dwordx4 v[118:121], v[122:123], off offset:256
	v_lshl_add_u64 v[104:105], v[86:87], 4, s[8:9]
	v_add_co_u32_e32 v104, vcc, s10, v104
	v_mov_b32_e32 v85, v75
	s_nop 0
	v_addc_co_u32_e32 v105, vcc, 0, v105, vcc
	v_lshl_add_u64 v[122:123], v[84:85], 4, s[8:9]
	v_add_co_u32_e32 v126, vcc, s10, v122
	v_mov_b32_e32 v83, v75
	s_nop 0
	v_addc_co_u32_e32 v127, vcc, 0, v123, vcc
	global_load_dwordx4 v[122:125], v[104:105], off offset:256
	s_nop 0
	global_load_dwordx4 v[126:129], v[126:127], off offset:256
	v_lshl_add_u64 v[104:105], v[82:83], 4, s[8:9]
	v_add_co_u32_e32 v104, vcc, s10, v104
	v_mov_b32_e32 v81, v75
	s_nop 0
	v_addc_co_u32_e32 v105, vcc, 0, v105, vcc
	global_load_dwordx4 v[130:133], v[104:105], off offset:256
	v_lshl_add_u64 v[104:105], v[80:81], 4, s[8:9]
	v_add_co_u32_e32 v104, vcc, s10, v104
	s_waitcnt vmcnt(2) lgkmcnt(8)
	v_mul_f64 v[138:139], v[54:55], v[124:125]
	v_addc_co_u32_e32 v105, vcc, 0, v105, vcc
	global_load_dwordx4 v[134:137], v[104:105], off offset:256
	v_mul_f64 v[104:105], v[70:71], v[98:99]
	v_mul_f64 v[98:99], v[68:69], v[98:99]
	v_fmac_f64_e32 v[104:105], v[68:69], v[96:97]
	v_fma_f64 v[68:69], v[70:71], v[96:97], -v[98:99]
	v_mul_f64 v[70:71], v[42:43], v[102:103]
	v_mul_f64 v[96:97], v[40:41], v[102:103]
	;; [unrolled: 1-line block ×7, first 2 shown]
	s_waitcnt vmcnt(2) lgkmcnt(5)
	v_mul_f64 v[140:141], v[58:59], v[128:129]
	v_mul_f64 v[128:129], v[56:57], v[128:129]
	s_waitcnt vmcnt(1) lgkmcnt(4)
	v_mul_f64 v[142:143], v[62:63], v[132:133]
	v_mul_f64 v[132:133], v[60:61], v[132:133]
	v_fmac_f64_e32 v[70:71], v[40:41], v[100:101]
	v_fma_f64 v[96:97], v[42:43], v[100:101], -v[96:97]
	v_fmac_f64_e32 v[98:99], v[44:45], v[114:115]
	v_fma_f64 v[100:101], v[46:47], v[114:115], -v[102:103]
	;; [unrolled: 2-line block ×6, first 2 shown]
	v_add_f64 v[42:43], v[34:35], -v[68:69]
	v_fma_f64 v[34:35], v[34:35], 2.0, -v[42:43]
	s_waitcnt lgkmcnt(1)
	v_add_f64 v[44:45], v[36:37], -v[70:71]
	v_add_f64 v[46:47], v[38:39], -v[96:97]
	;; [unrolled: 1-line block ×10, first 2 shown]
	v_fma_f64 v[36:37], v[36:37], 2.0, -v[44:45]
	v_fma_f64 v[38:39], v[38:39], 2.0, -v[46:47]
	;; [unrolled: 1-line block ×10, first 2 shown]
	s_waitcnt lgkmcnt(0)
	s_barrier
	s_waitcnt vmcnt(0)
	v_mul_f64 v[144:145], v[66:67], v[136:137]
	v_mul_f64 v[40:41], v[64:65], v[136:137]
	v_fmac_f64_e32 v[144:145], v[64:65], v[134:135]
	v_fma_f64 v[122:123], v[66:67], v[134:135], -v[40:41]
	v_add_f64 v[40:41], v[32:33], -v[104:105]
	v_fma_f64 v[32:33], v[32:33], 2.0, -v[40:41]
	v_add_f64 v[64:65], v[12:13], -v[142:143]
	v_add_f64 v[66:67], v[14:15], -v[120:121]
	;; [unrolled: 1-line block ×4, first 2 shown]
	v_fma_f64 v[12:13], v[12:13], 2.0, -v[64:65]
	v_fma_f64 v[14:15], v[14:15], 2.0, -v[66:67]
	;; [unrolled: 1-line block ×4, first 2 shown]
	ds_write_b128 v148, v[32:35]
	ds_write_b128 v148, v[40:43] offset:4624
	ds_write_b128 v113, v[36:39]
	ds_write_b128 v113, v[44:47] offset:4624
	;; [unrolled: 2-line block ×8, first 2 shown]
	s_and_saveexec_b64 s[10:11], s[2:3]
	s_cbranch_execz .LBB0_16
; %bb.15:
	v_mov_b32_e32 v95, 0
	v_lshl_add_u64 v[8:9], v[94:95], 4, s[8:9]
	v_add_co_u32_e32 v8, vcc, 0x1000, v8
	s_nop 1
	v_addc_co_u32_e32 v9, vcc, 0, v9, vcc
	global_load_dwordx4 v[8:11], v[8:9], off offset:256
	s_waitcnt vmcnt(0)
	v_mul_f64 v[12:13], v[0:1], v[10:11]
	v_mul_f64 v[10:11], v[2:3], v[10:11]
	v_fma_f64 v[2:3], v[2:3], v[8:9], -v[12:13]
	v_fmac_f64_e32 v[10:11], v[0:1], v[8:9]
	v_add_f64 v[2:3], v[6:7], -v[2:3]
	v_add_f64 v[0:1], v[4:5], -v[10:11]
	v_fma_f64 v[6:7], v[6:7], 2.0, -v[2:3]
	v_fma_f64 v[4:5], v[4:5], 2.0, -v[0:1]
	ds_write_b128 v148, v[4:7] offset:4352
	ds_write_b128 v148, v[0:3] offset:8976
.LBB0_16:
	s_or_b64 exec, exec, s[10:11]
	s_waitcnt lgkmcnt(0)
	s_barrier
	ds_read_b128 v[8:11], v79
	s_add_u32 s8, s8, 0x2310
	s_addc_u32 s9, s9, 0
	v_sub_u32_e32 v12, v146, v147
	v_cmp_ne_u32_e32 vcc, 0, v74
                                        ; implicit-def: $vgpr6_vgpr7
                                        ; implicit-def: $vgpr2_vgpr3
	s_and_saveexec_b64 s[10:11], vcc
	s_xor_b64 s[10:11], exec, s[10:11]
	s_cbranch_execz .LBB0_18
; %bb.17:
	v_lshl_add_u64 v[0:1], v[74:75], 4, s[8:9]
	global_load_dwordx4 v[14:17], v[0:1], off
	ds_read_b128 v[0:3], v12 offset:9248
	s_waitcnt lgkmcnt(0)
	v_add_f64 v[4:5], v[8:9], v[0:1]
	v_add_f64 v[0:1], v[8:9], -v[0:1]
	v_add_f64 v[6:7], v[10:11], v[2:3]
	v_add_f64 v[2:3], v[10:11], -v[2:3]
	v_mul_f64 v[8:9], v[0:1], 0.5
	v_mul_f64 v[6:7], v[6:7], 0.5
	;; [unrolled: 1-line block ×3, first 2 shown]
	s_waitcnt vmcnt(0)
	v_mul_f64 v[10:11], v[8:9], v[16:17]
	v_fma_f64 v[2:3], v[6:7], v[16:17], v[0:1]
	v_fma_f64 v[16:17], v[6:7], v[16:17], -v[0:1]
	v_fma_f64 v[0:1], 0.5, v[4:5], v[10:11]
	v_fma_f64 v[4:5], v[4:5], 0.5, -v[10:11]
	v_fma_f64 v[2:3], -v[14:15], v[8:9], v[2:3]
	v_fmac_f64_e32 v[0:1], v[6:7], v[14:15]
	v_fma_f64 v[4:5], -v[6:7], v[14:15], v[4:5]
	v_fma_f64 v[6:7], -v[14:15], v[8:9], v[16:17]
                                        ; implicit-def: $vgpr8_vgpr9
.LBB0_18:
	s_andn2_saveexec_b64 s[10:11], s[10:11]
	s_cbranch_execz .LBB0_20
; %bb.19:
	ds_read_b64 v[6:7], v146 offset:4632
	v_mov_b64_e32 v[2:3], 0
	s_waitcnt lgkmcnt(1)
	v_add_f64 v[0:1], v[8:9], v[10:11]
	v_add_f64 v[4:5], v[8:9], -v[10:11]
	s_waitcnt lgkmcnt(0)
	v_xor_b32_e32 v7, 0x80000000, v7
	ds_write_b64 v146, v[6:7] offset:4632
	v_mov_b64_e32 v[6:7], v[2:3]
.LBB0_20:
	s_or_b64 exec, exec, s[10:11]
	s_waitcnt lgkmcnt(0)
	v_lshl_add_u64 v[8:9], v[92:93], 4, s[8:9]
	global_load_dwordx4 v[8:11], v[8:9], off
	v_lshl_add_u64 v[14:15], v[90:91], 4, s[8:9]
	global_load_dwordx4 v[14:17], v[14:15], off
	;; [unrolled: 2-line block ×3, first 2 shown]
	ds_write_b128 v79, v[0:3]
	ds_write_b128 v12, v[4:7] offset:9248
	v_lshl_add_u64 v[0:1], v[86:87], 4, s[8:9]
	ds_read_b128 v[4:7], v113
	ds_read_b128 v[22:25], v12 offset:8704
	global_load_dwordx4 v[0:3], v[0:1], off
	s_waitcnt lgkmcnt(0)
	v_add_f64 v[26:27], v[4:5], v[22:23]
	v_add_f64 v[4:5], v[4:5], -v[22:23]
	v_add_f64 v[28:29], v[6:7], v[24:25]
	v_add_f64 v[6:7], v[6:7], -v[24:25]
	v_mul_f64 v[24:25], v[4:5], 0.5
	v_mul_f64 v[22:23], v[28:29], 0.5
	v_mul_f64 v[4:5], v[6:7], 0.5
	s_waitcnt vmcnt(3)
	v_mul_f64 v[28:29], v[24:25], v[10:11]
	v_fma_f64 v[6:7], v[22:23], v[10:11], v[4:5]
	v_fma_f64 v[10:11], v[22:23], v[10:11], -v[4:5]
	v_fma_f64 v[4:5], 0.5, v[26:27], v[28:29]
	v_fma_f64 v[6:7], -v[8:9], v[24:25], v[6:7]
	v_fma_f64 v[26:27], v[26:27], 0.5, -v[28:29]
	v_fmac_f64_e32 v[4:5], v[22:23], v[8:9]
	v_fma_f64 v[10:11], -v[8:9], v[24:25], v[10:11]
	v_fma_f64 v[8:9], -v[22:23], v[8:9], v[26:27]
	ds_write_b128 v113, v[4:7]
	ds_write_b128 v12, v[8:11] offset:8704
	v_lshl_add_u64 v[22:23], v[84:85], 4, s[8:9]
	ds_read_b128 v[4:7], v112
	ds_read_b128 v[8:11], v12 offset:8160
	global_load_dwordx4 v[22:25], v[22:23], off
	s_waitcnt lgkmcnt(0)
	v_add_f64 v[26:27], v[4:5], v[8:9]
	v_add_f64 v[4:5], v[4:5], -v[8:9]
	v_add_f64 v[28:29], v[6:7], v[10:11]
	v_add_f64 v[6:7], v[6:7], -v[10:11]
	v_mul_f64 v[10:11], v[4:5], 0.5
	v_mul_f64 v[8:9], v[28:29], 0.5
	v_mul_f64 v[4:5], v[6:7], 0.5
	s_waitcnt vmcnt(3)
	v_mul_f64 v[28:29], v[10:11], v[16:17]
	v_fma_f64 v[6:7], v[8:9], v[16:17], v[4:5]
	v_fma_f64 v[16:17], v[8:9], v[16:17], -v[4:5]
	v_fma_f64 v[4:5], 0.5, v[26:27], v[28:29]
	v_fma_f64 v[6:7], -v[14:15], v[10:11], v[6:7]
	v_fma_f64 v[26:27], v[26:27], 0.5, -v[28:29]
	v_fmac_f64_e32 v[4:5], v[8:9], v[14:15]
	v_fma_f64 v[10:11], -v[14:15], v[10:11], v[16:17]
	v_fma_f64 v[8:9], -v[8:9], v[14:15], v[26:27]
	ds_write_b128 v112, v[4:7]
	ds_write_b128 v12, v[8:11] offset:8160
	v_lshl_add_u64 v[14:15], v[82:83], 4, s[8:9]
	ds_read_b128 v[4:7], v111
	ds_read_b128 v[8:11], v12 offset:7616
	global_load_dwordx4 v[14:17], v[14:15], off
	s_waitcnt lgkmcnt(0)
	v_add_f64 v[26:27], v[4:5], v[8:9]
	v_add_f64 v[4:5], v[4:5], -v[8:9]
	v_add_f64 v[28:29], v[6:7], v[10:11]
	v_add_f64 v[6:7], v[6:7], -v[10:11]
	v_mul_f64 v[10:11], v[4:5], 0.5
	v_mul_f64 v[8:9], v[28:29], 0.5
	v_mul_f64 v[4:5], v[6:7], 0.5
	s_waitcnt vmcnt(3)
	v_mul_f64 v[28:29], v[10:11], v[20:21]
	v_fma_f64 v[6:7], v[8:9], v[20:21], v[4:5]
	v_fma_f64 v[20:21], v[8:9], v[20:21], -v[4:5]
	v_fma_f64 v[4:5], 0.5, v[26:27], v[28:29]
	v_fma_f64 v[6:7], -v[18:19], v[10:11], v[6:7]
	v_fma_f64 v[26:27], v[26:27], 0.5, -v[28:29]
	v_fmac_f64_e32 v[4:5], v[8:9], v[18:19]
	v_fma_f64 v[10:11], -v[18:19], v[10:11], v[20:21]
	v_fma_f64 v[8:9], -v[8:9], v[18:19], v[26:27]
	ds_write_b128 v111, v[4:7]
	ds_write_b128 v12, v[8:11] offset:7616
	v_lshl_add_u64 v[18:19], v[80:81], 4, s[8:9]
	ds_read_b128 v[4:7], v110
	ds_read_b128 v[8:11], v12 offset:7072
	global_load_dwordx4 v[18:21], v[18:19], off
	s_waitcnt lgkmcnt(0)
	v_add_f64 v[26:27], v[4:5], v[8:9]
	v_add_f64 v[4:5], v[4:5], -v[8:9]
	v_add_f64 v[28:29], v[6:7], v[10:11]
	v_add_f64 v[6:7], v[6:7], -v[10:11]
	v_mul_f64 v[8:9], v[4:5], 0.5
	v_mul_f64 v[10:11], v[28:29], 0.5
	v_mul_f64 v[4:5], v[6:7], 0.5
	s_waitcnt vmcnt(3)
	v_mul_f64 v[6:7], v[8:9], v[2:3]
	v_fma_f64 v[28:29], v[10:11], v[2:3], v[4:5]
	v_fma_f64 v[30:31], v[10:11], v[2:3], -v[4:5]
	v_fma_f64 v[2:3], 0.5, v[26:27], v[6:7]
	v_fma_f64 v[4:5], -v[0:1], v[8:9], v[28:29]
	v_fma_f64 v[6:7], v[26:27], 0.5, -v[6:7]
	v_fmac_f64_e32 v[2:3], v[10:11], v[0:1]
	v_fma_f64 v[8:9], -v[0:1], v[8:9], v[30:31]
	v_fma_f64 v[6:7], -v[10:11], v[0:1], v[6:7]
	ds_write_b128 v110, v[2:5]
	ds_write_b128 v12, v[6:9] offset:7072
	ds_read_b128 v[0:3], v109
	ds_read_b128 v[4:7], v12 offset:6528
	s_waitcnt lgkmcnt(0)
	v_add_f64 v[8:9], v[0:1], v[4:5]
	v_add_f64 v[0:1], v[0:1], -v[4:5]
	v_add_f64 v[10:11], v[2:3], v[6:7]
	v_add_f64 v[2:3], v[2:3], -v[6:7]
	v_mul_f64 v[6:7], v[0:1], 0.5
	v_mul_f64 v[4:5], v[10:11], 0.5
	;; [unrolled: 1-line block ×3, first 2 shown]
	s_waitcnt vmcnt(2)
	v_mul_f64 v[10:11], v[6:7], v[24:25]
	v_fma_f64 v[2:3], v[4:5], v[24:25], v[0:1]
	v_fma_f64 v[24:25], v[4:5], v[24:25], -v[0:1]
	v_fma_f64 v[0:1], 0.5, v[8:9], v[10:11]
	v_fma_f64 v[2:3], -v[22:23], v[6:7], v[2:3]
	v_fma_f64 v[8:9], v[8:9], 0.5, -v[10:11]
	v_fmac_f64_e32 v[0:1], v[4:5], v[22:23]
	v_fma_f64 v[6:7], -v[22:23], v[6:7], v[24:25]
	v_fma_f64 v[4:5], -v[4:5], v[22:23], v[8:9]
	ds_write_b128 v109, v[0:3]
	ds_write_b128 v12, v[4:7] offset:6528
	ds_read_b128 v[0:3], v108
	ds_read_b128 v[4:7], v12 offset:5984
	s_waitcnt lgkmcnt(0)
	v_add_f64 v[8:9], v[0:1], v[4:5]
	v_add_f64 v[0:1], v[0:1], -v[4:5]
	v_add_f64 v[10:11], v[2:3], v[6:7]
	v_add_f64 v[2:3], v[2:3], -v[6:7]
	v_mul_f64 v[6:7], v[0:1], 0.5
	v_mul_f64 v[4:5], v[10:11], 0.5
	;; [unrolled: 1-line block ×3, first 2 shown]
	s_waitcnt vmcnt(1)
	v_mul_f64 v[10:11], v[6:7], v[16:17]
	v_fma_f64 v[2:3], v[4:5], v[16:17], v[0:1]
	v_fma_f64 v[16:17], v[4:5], v[16:17], -v[0:1]
	v_fma_f64 v[0:1], 0.5, v[8:9], v[10:11]
	v_fma_f64 v[2:3], -v[14:15], v[6:7], v[2:3]
	v_fma_f64 v[8:9], v[8:9], 0.5, -v[10:11]
	v_fmac_f64_e32 v[0:1], v[4:5], v[14:15]
	v_fma_f64 v[6:7], -v[14:15], v[6:7], v[16:17]
	v_fma_f64 v[4:5], -v[4:5], v[14:15], v[8:9]
	ds_write_b128 v108, v[0:3]
	ds_write_b128 v12, v[4:7] offset:5984
	ds_read_b128 v[0:3], v107
	ds_read_b128 v[4:7], v12 offset:5440
	s_waitcnt lgkmcnt(0)
	v_add_f64 v[8:9], v[0:1], v[4:5]
	v_add_f64 v[0:1], v[0:1], -v[4:5]
	v_add_f64 v[10:11], v[2:3], v[6:7]
	v_add_f64 v[2:3], v[2:3], -v[6:7]
	v_mul_f64 v[6:7], v[0:1], 0.5
	v_mul_f64 v[4:5], v[10:11], 0.5
	;; [unrolled: 1-line block ×3, first 2 shown]
	s_waitcnt vmcnt(0)
	v_mul_f64 v[14:15], v[6:7], v[20:21]
	v_fma_f64 v[2:3], v[4:5], v[20:21], v[10:11]
	v_fma_f64 v[0:1], 0.5, v[8:9], v[14:15]
	v_fma_f64 v[2:3], -v[18:19], v[6:7], v[2:3]
	v_fmac_f64_e32 v[0:1], v[4:5], v[18:19]
	ds_write_b128 v107, v[0:3]
	v_fma_f64 v[0:1], v[8:9], 0.5, -v[14:15]
	v_fma_f64 v[2:3], v[4:5], v[20:21], -v[10:11]
	v_fma_f64 v[0:1], -v[4:5], v[18:19], v[0:1]
	v_fma_f64 v[2:3], -v[18:19], v[6:7], v[2:3]
	ds_write_b128 v12, v[0:3] offset:5440
	s_and_saveexec_b64 s[10:11], s[2:3]
	s_cbranch_execz .LBB0_22
; %bb.21:
	v_mov_b32_e32 v79, 0
	v_lshl_add_u64 v[0:1], v[78:79], 4, s[8:9]
	global_load_dwordx4 v[0:3], v[0:1], off
	ds_read_b128 v[4:7], v106
	ds_read_b128 v[8:11], v12 offset:4896
	s_waitcnt lgkmcnt(0)
	v_add_f64 v[14:15], v[4:5], v[8:9]
	v_add_f64 v[4:5], v[4:5], -v[8:9]
	v_add_f64 v[16:17], v[6:7], v[10:11]
	v_add_f64 v[6:7], v[6:7], -v[10:11]
	v_mul_f64 v[8:9], v[4:5], 0.5
	v_mul_f64 v[10:11], v[16:17], 0.5
	;; [unrolled: 1-line block ×3, first 2 shown]
	s_waitcnt vmcnt(0)
	v_mul_f64 v[6:7], v[8:9], v[2:3]
	v_fma_f64 v[16:17], v[10:11], v[2:3], v[4:5]
	v_fma_f64 v[18:19], v[10:11], v[2:3], -v[4:5]
	v_fma_f64 v[2:3], 0.5, v[14:15], v[6:7]
	v_fma_f64 v[4:5], -v[0:1], v[8:9], v[16:17]
	v_fma_f64 v[6:7], v[14:15], 0.5, -v[6:7]
	v_fmac_f64_e32 v[2:3], v[10:11], v[0:1]
	v_fma_f64 v[8:9], -v[0:1], v[8:9], v[18:19]
	v_fma_f64 v[6:7], -v[10:11], v[0:1], v[6:7]
	ds_write_b128 v106, v[2:5]
	ds_write_b128 v12, v[6:9] offset:4896
.LBB0_22:
	s_or_b64 exec, exec, s[10:11]
	s_waitcnt lgkmcnt(0)
	s_barrier
	s_and_saveexec_b64 s[2:3], s[0:1]
	s_cbranch_execz .LBB0_25
; %bb.23:
	v_mul_lo_u32 v2, s5, v76
	v_mul_lo_u32 v3, s4, v77
	v_mad_u64_u32 v[0:1], s[0:1], s4, v76, 0
	v_add3_u32 v1, v1, v3, v2
	v_lshl_add_u32 v2, v74, 4, v146
	ds_read_b128 v[4:7], v2
	ds_read_b128 v[8:11], v2 offset:544
	v_lshl_add_u64 v[0:1], v[0:1], 4, s[6:7]
	v_mov_b32_e32 v75, 0
	v_lshl_add_u64 v[0:1], v[72:73], 4, v[0:1]
	v_lshl_add_u64 v[12:13], v[74:75], 4, v[0:1]
	s_waitcnt lgkmcnt(1)
	global_store_dwordx4 v[12:13], v[4:7], off
	v_cmp_eq_u32_e32 vcc, 33, v74
	s_nop 0
	v_add_u32_e32 v4, 34, v74
	v_mov_b32_e32 v5, v75
	v_lshl_add_u64 v[4:5], v[4:5], 4, v[0:1]
	s_waitcnt lgkmcnt(0)
	global_store_dwordx4 v[4:5], v[8:11], off
	ds_read_b128 v[4:7], v2 offset:1088
	s_nop 0
	v_add_u32_e32 v8, 0x44, v74
	v_mov_b32_e32 v9, v75
	v_lshl_add_u64 v[12:13], v[8:9], 4, v[0:1]
	ds_read_b128 v[8:11], v2 offset:1632
	s_waitcnt lgkmcnt(1)
	global_store_dwordx4 v[12:13], v[4:7], off
	s_nop 1
	v_add_u32_e32 v4, 0x66, v74
	v_mov_b32_e32 v5, v75
	v_lshl_add_u64 v[4:5], v[4:5], 4, v[0:1]
	s_waitcnt lgkmcnt(0)
	global_store_dwordx4 v[4:5], v[8:11], off
	ds_read_b128 v[4:7], v2 offset:2176
	s_nop 0
	v_add_u32_e32 v8, 0x88, v74
	v_mov_b32_e32 v9, v75
	v_lshl_add_u64 v[12:13], v[8:9], 4, v[0:1]
	ds_read_b128 v[8:11], v2 offset:2720
	s_waitcnt lgkmcnt(1)
	global_store_dwordx4 v[12:13], v[4:7], off
	;; [unrolled: 14-line block ×7, first 2 shown]
	s_nop 1
	v_add_u32_e32 v4, 0x1fe, v74
	v_mov_b32_e32 v5, v75
	v_lshl_add_u64 v[12:13], v[4:5], 4, v[0:1]
	ds_read_b128 v[4:7], v2 offset:8704
	s_waitcnt lgkmcnt(1)
	global_store_dwordx4 v[12:13], v[8:11], off
	s_nop 1
	v_add_u32_e32 v8, 0x220, v74
	v_mov_b32_e32 v9, v75
	v_lshl_add_u64 v[8:9], v[8:9], 4, v[0:1]
	s_waitcnt lgkmcnt(0)
	global_store_dwordx4 v[8:9], v[4:7], off
	s_and_b64 exec, exec, vcc
	s_cbranch_execz .LBB0_25
; %bb.24:
	ds_read_b128 v[2:5], v2 offset:8720
	v_add_co_u32_e32 v0, vcc, 0x2000, v0
	s_nop 1
	v_addc_co_u32_e32 v1, vcc, 0, v1, vcc
	s_waitcnt lgkmcnt(0)
	global_store_dwordx4 v[0:1], v[2:5], off offset:1056
.LBB0_25:
	s_endpgm
	.section	.rodata,"a",@progbits
	.p2align	6, 0x0
	.amdhsa_kernel fft_rtc_back_len578_factors_17_17_2_wgs_238_tpt_34_halfLds_dp_op_CI_CI_unitstride_sbrr_R2C_dirReg
		.amdhsa_group_segment_fixed_size 0
		.amdhsa_private_segment_fixed_size 0
		.amdhsa_kernarg_size 104
		.amdhsa_user_sgpr_count 2
		.amdhsa_user_sgpr_dispatch_ptr 0
		.amdhsa_user_sgpr_queue_ptr 0
		.amdhsa_user_sgpr_kernarg_segment_ptr 1
		.amdhsa_user_sgpr_dispatch_id 0
		.amdhsa_user_sgpr_kernarg_preload_length 0
		.amdhsa_user_sgpr_kernarg_preload_offset 0
		.amdhsa_user_sgpr_private_segment_size 0
		.amdhsa_uses_dynamic_stack 0
		.amdhsa_enable_private_segment 0
		.amdhsa_system_sgpr_workgroup_id_x 1
		.amdhsa_system_sgpr_workgroup_id_y 0
		.amdhsa_system_sgpr_workgroup_id_z 0
		.amdhsa_system_sgpr_workgroup_info 0
		.amdhsa_system_vgpr_workitem_id 0
		.amdhsa_next_free_vgpr 186
		.amdhsa_next_free_sgpr 60
		.amdhsa_accum_offset 188
		.amdhsa_reserve_vcc 1
		.amdhsa_float_round_mode_32 0
		.amdhsa_float_round_mode_16_64 0
		.amdhsa_float_denorm_mode_32 3
		.amdhsa_float_denorm_mode_16_64 3
		.amdhsa_dx10_clamp 1
		.amdhsa_ieee_mode 1
		.amdhsa_fp16_overflow 0
		.amdhsa_tg_split 0
		.amdhsa_exception_fp_ieee_invalid_op 0
		.amdhsa_exception_fp_denorm_src 0
		.amdhsa_exception_fp_ieee_div_zero 0
		.amdhsa_exception_fp_ieee_overflow 0
		.amdhsa_exception_fp_ieee_underflow 0
		.amdhsa_exception_fp_ieee_inexact 0
		.amdhsa_exception_int_div_zero 0
	.end_amdhsa_kernel
	.text
.Lfunc_end0:
	.size	fft_rtc_back_len578_factors_17_17_2_wgs_238_tpt_34_halfLds_dp_op_CI_CI_unitstride_sbrr_R2C_dirReg, .Lfunc_end0-fft_rtc_back_len578_factors_17_17_2_wgs_238_tpt_34_halfLds_dp_op_CI_CI_unitstride_sbrr_R2C_dirReg
                                        ; -- End function
	.section	.AMDGPU.csdata,"",@progbits
; Kernel info:
; codeLenInByte = 18232
; NumSgprs: 66
; NumVgprs: 186
; NumAgprs: 0
; TotalNumVgprs: 186
; ScratchSize: 0
; MemoryBound: 0
; FloatMode: 240
; IeeeMode: 1
; LDSByteSize: 0 bytes/workgroup (compile time only)
; SGPRBlocks: 8
; VGPRBlocks: 23
; NumSGPRsForWavesPerEU: 66
; NumVGPRsForWavesPerEU: 186
; AccumOffset: 188
; Occupancy: 2
; WaveLimiterHint : 1
; COMPUTE_PGM_RSRC2:SCRATCH_EN: 0
; COMPUTE_PGM_RSRC2:USER_SGPR: 2
; COMPUTE_PGM_RSRC2:TRAP_HANDLER: 0
; COMPUTE_PGM_RSRC2:TGID_X_EN: 1
; COMPUTE_PGM_RSRC2:TGID_Y_EN: 0
; COMPUTE_PGM_RSRC2:TGID_Z_EN: 0
; COMPUTE_PGM_RSRC2:TIDIG_COMP_CNT: 0
; COMPUTE_PGM_RSRC3_GFX90A:ACCUM_OFFSET: 46
; COMPUTE_PGM_RSRC3_GFX90A:TG_SPLIT: 0
	.text
	.p2alignl 6, 3212836864
	.fill 256, 4, 3212836864
	.type	__hip_cuid_2b22b0fdee5f4bc3,@object ; @__hip_cuid_2b22b0fdee5f4bc3
	.section	.bss,"aw",@nobits
	.globl	__hip_cuid_2b22b0fdee5f4bc3
__hip_cuid_2b22b0fdee5f4bc3:
	.byte	0                               ; 0x0
	.size	__hip_cuid_2b22b0fdee5f4bc3, 1

	.ident	"AMD clang version 19.0.0git (https://github.com/RadeonOpenCompute/llvm-project roc-6.4.0 25133 c7fe45cf4b819c5991fe208aaa96edf142730f1d)"
	.section	".note.GNU-stack","",@progbits
	.addrsig
	.addrsig_sym __hip_cuid_2b22b0fdee5f4bc3
	.amdgpu_metadata
---
amdhsa.kernels:
  - .agpr_count:     0
    .args:
      - .actual_access:  read_only
        .address_space:  global
        .offset:         0
        .size:           8
        .value_kind:     global_buffer
      - .offset:         8
        .size:           8
        .value_kind:     by_value
      - .actual_access:  read_only
        .address_space:  global
        .offset:         16
        .size:           8
        .value_kind:     global_buffer
      - .actual_access:  read_only
        .address_space:  global
        .offset:         24
        .size:           8
        .value_kind:     global_buffer
      - .actual_access:  read_only
        .address_space:  global
        .offset:         32
        .size:           8
        .value_kind:     global_buffer
      - .offset:         40
        .size:           8
        .value_kind:     by_value
      - .actual_access:  read_only
        .address_space:  global
        .offset:         48
        .size:           8
        .value_kind:     global_buffer
      - .actual_access:  read_only
        .address_space:  global
        .offset:         56
        .size:           8
        .value_kind:     global_buffer
      - .offset:         64
        .size:           4
        .value_kind:     by_value
      - .actual_access:  read_only
        .address_space:  global
        .offset:         72
        .size:           8
        .value_kind:     global_buffer
      - .actual_access:  read_only
        .address_space:  global
        .offset:         80
        .size:           8
        .value_kind:     global_buffer
      - .actual_access:  read_only
        .address_space:  global
        .offset:         88
        .size:           8
        .value_kind:     global_buffer
      - .actual_access:  write_only
        .address_space:  global
        .offset:         96
        .size:           8
        .value_kind:     global_buffer
    .group_segment_fixed_size: 0
    .kernarg_segment_align: 8
    .kernarg_segment_size: 104
    .language:       OpenCL C
    .language_version:
      - 2
      - 0
    .max_flat_workgroup_size: 238
    .name:           fft_rtc_back_len578_factors_17_17_2_wgs_238_tpt_34_halfLds_dp_op_CI_CI_unitstride_sbrr_R2C_dirReg
    .private_segment_fixed_size: 0
    .sgpr_count:     66
    .sgpr_spill_count: 0
    .symbol:         fft_rtc_back_len578_factors_17_17_2_wgs_238_tpt_34_halfLds_dp_op_CI_CI_unitstride_sbrr_R2C_dirReg.kd
    .uniform_work_group_size: 1
    .uses_dynamic_stack: false
    .vgpr_count:     186
    .vgpr_spill_count: 0
    .wavefront_size: 64
amdhsa.target:   amdgcn-amd-amdhsa--gfx950
amdhsa.version:
  - 1
  - 2
...

	.end_amdgpu_metadata
